;; amdgpu-corpus repo=ROCm/rocFFT kind=compiled arch=gfx1030 opt=O3
	.text
	.amdgcn_target "amdgcn-amd-amdhsa--gfx1030"
	.amdhsa_code_object_version 6
	.protected	bluestein_single_back_len1600_dim1_sp_op_CI_CI ; -- Begin function bluestein_single_back_len1600_dim1_sp_op_CI_CI
	.globl	bluestein_single_back_len1600_dim1_sp_op_CI_CI
	.p2align	8
	.type	bluestein_single_back_len1600_dim1_sp_op_CI_CI,@function
bluestein_single_back_len1600_dim1_sp_op_CI_CI: ; @bluestein_single_back_len1600_dim1_sp_op_CI_CI
; %bb.0:
	s_load_dwordx4 s[12:15], s[4:5], 0x28
	v_mul_u32_u24_e32 v1, 0x290, v0
	v_mov_b32_e32 v111, 0
	s_mov_b32 s0, exec_lo
	v_lshrrev_b32_e32 v2, 16, v1
	v_lshl_add_u32 v110, s6, 1, v2
	s_waitcnt lgkmcnt(0)
	v_cmpx_gt_u64_e64 s[12:13], v[110:111]
	s_cbranch_execz .LBB0_23
; %bb.1:
	s_clause 0x1
	s_load_dwordx4 s[8:11], s[4:5], 0x18
	s_load_dwordx2 s[6:7], s[4:5], 0x0
	v_mul_lo_u16 v1, 0x64, v2
	v_sub_nc_u16 v31, v0, v1
	v_and_b32_e32 v139, 0xffff, v31
	v_lshlrev_b32_e32 v25, 3, v139
	v_or_b32_e32 v138, 0x280, v139
	v_or_b32_e32 v140, 0x500, v139
	s_waitcnt lgkmcnt(0)
	s_load_dwordx4 s[0:3], s[8:9], 0x0
	s_clause 0x1
	global_load_dwordx2 v[127:128], v25, s[6:7]
	global_load_dwordx2 v[119:120], v25, s[6:7] offset:1280
	v_add_co_u32 v100, s8, s6, v25
	v_add_co_ci_u32_e64 v101, null, s7, 0, s8
	v_lshlrev_b32_e32 v143, 3, v138
	v_add_co_u32 v108, vcc_lo, 0x800, v100
	v_add_co_ci_u32_e32 v109, vcc_lo, 0, v101, vcc_lo
	v_add_co_u32 v104, vcc_lo, 0x1800, v100
	v_add_co_ci_u32_e32 v105, vcc_lo, 0, v101, vcc_lo
	v_lshlrev_b32_e32 v142, 3, v140
	s_clause 0x4
	global_load_dwordx2 v[115:116], v143, s[6:7]
	global_load_dwordx2 v[125:126], v[108:109], off offset:1792
	global_load_dwordx2 v[113:114], v[104:105], off offset:256
	;; [unrolled: 1-line block ×3, first 2 shown]
	global_load_dwordx2 v[111:112], v142, s[6:7]
	s_waitcnt lgkmcnt(0)
	v_mad_u64_u32 v[0:1], null, s2, v110, 0
	v_mad_u64_u32 v[3:4], null, s0, v139, 0
	s_mul_i32 s8, s1, 0xa0
	s_mul_hi_u32 s9, s0, 0xa0
	s_mul_i32 s2, s0, 0xa0
	v_mad_u64_u32 v[5:6], null, s3, v110, v[1:2]
	v_mad_u64_u32 v[6:7], null, s0, v138, 0
	s_add_i32 s3, s9, s8
	v_and_b32_e32 v2, 1, v2
	s_lshl_b64 s[12:13], s[2:3], 3
	s_mul_i32 s2, s1, 0xa00
	v_mad_u64_u32 v[8:9], null, s1, v139, v[4:5]
	v_mov_b32_e32 v1, v5
	v_mad_u64_u32 v[9:10], null, s0, v140, 0
	v_mov_b32_e32 v5, v7
	v_lshlrev_b64 v[0:1], 3, v[0:1]
	v_mov_b32_e32 v4, v8
	v_mov_b32_e32 v7, v10
	v_mad_u64_u32 v[10:11], null, s1, v138, v[5:6]
	v_lshlrev_b64 v[3:4], 3, v[3:4]
	v_add_co_u32 v19, vcc_lo, s14, v0
	v_add_co_ci_u32_e32 v20, vcc_lo, s15, v1, vcc_lo
	v_mad_u64_u32 v[0:1], null, s1, v140, v[7:8]
	v_add_co_u32 v3, vcc_lo, v19, v3
	v_add_co_ci_u32_e32 v4, vcc_lo, v20, v4, vcc_lo
	v_mov_b32_e32 v7, v10
	v_add_co_u32 v11, vcc_lo, v3, s12
	v_add_co_ci_u32_e32 v12, vcc_lo, s13, v4, vcc_lo
	v_mov_b32_e32 v10, v0
	v_add_co_u32 v0, vcc_lo, v11, s12
	v_add_co_ci_u32_e32 v1, vcc_lo, s13, v12, vcc_lo
	v_lshlrev_b64 v[8:9], 3, v[9:10]
	v_add_co_u32 v13, vcc_lo, v0, s12
	v_add_co_ci_u32_e32 v14, vcc_lo, s13, v1, vcc_lo
	v_lshlrev_b64 v[5:6], 3, v[6:7]
	v_add_co_u32 v8, vcc_lo, v19, v8
	v_mad_u64_u32 v[15:16], null, 0xa00, s0, v[13:14]
	v_add_co_ci_u32_e32 v9, vcc_lo, v20, v9, vcc_lo
	s_clause 0x2
	global_load_dwordx2 v[17:18], v[3:4], off
	global_load_dwordx2 v[7:8], v[8:9], off
	;; [unrolled: 1-line block ×3, first 2 shown]
	v_add_co_u32 v3, vcc_lo, v19, v5
	v_add_nc_u32_e32 v16, s2, v16
	v_add_co_ci_u32_e32 v4, vcc_lo, v20, v6, vcc_lo
	v_add_co_u32 v5, vcc_lo, v15, s12
	v_add_co_ci_u32_e32 v6, vcc_lo, s13, v16, vcc_lo
	s_clause 0x1
	global_load_dwordx2 v[11:12], v[0:1], off
	global_load_dwordx2 v[13:14], v[13:14], off
	v_add_co_u32 v19, vcc_lo, v5, s12
	v_add_co_ci_u32_e32 v20, vcc_lo, s13, v6, vcc_lo
	v_add_co_u32 v106, vcc_lo, 0x2000, v100
	global_load_dwordx2 v[21:22], v[3:4], off
	v_mad_u64_u32 v[0:1], null, 0xa00, s0, v[19:20]
	global_load_dwordx2 v[121:122], v[104:105], off offset:1536
	global_load_dwordx2 v[15:16], v[15:16], off
	global_load_dwordx2 v[5:6], v[5:6], off
	v_add_co_ci_u32_e32 v107, vcc_lo, 0, v101, vcc_lo
	v_add_co_u32 v102, vcc_lo, 0x2800, v100
	v_add_co_ci_u32_e32 v103, vcc_lo, 0, v101, vcc_lo
	v_add_nc_u32_e32 v1, s2, v1
	global_load_dwordx2 v[19:20], v[19:20], off
	s_clause 0x1
	global_load_dwordx2 v[123:124], v[106:107], off offset:768
	global_load_dwordx2 v[117:118], v[102:103], off offset:1280
	global_load_dwordx2 v[23:24], v[0:1], off
	v_cmp_eq_u32_e32 vcc_lo, 1, v2
	s_load_dwordx2 s[2:3], s[4:5], 0x38
	s_load_dwordx4 s[8:11], s[10:11], 0x0
	v_cndmask_b32_e64 v141, 0, 0x3200, vcc_lo
	v_cmp_gt_u16_e32 vcc_lo, 60, v31
	v_add_nc_u32_e32 v137, v141, v25
	v_add_nc_u32_e32 v4, 0x800, v137
	;; [unrolled: 1-line block ×4, first 2 shown]
	s_waitcnt vmcnt(12)
	v_mul_f32_e32 v25, v18, v128
	s_waitcnt vmcnt(11)
	v_mul_f32_e32 v32, v7, v112
	;; [unrolled: 2-line block ×3, first 2 shown]
	v_mul_f32_e32 v27, v8, v112
	v_mul_f32_e32 v29, v10, v120
	;; [unrolled: 1-line block ×3, first 2 shown]
	v_fmac_f32_e32 v25, v17, v127
	v_fma_f32 v30, v10, v119, -v28
	v_fma_f32 v28, v8, v111, -v32
	v_fmac_f32_e32 v27, v7, v111
	v_fmac_f32_e32 v29, v9, v119
	s_waitcnt vmcnt(9)
	v_mul_f32_e32 v8, v11, v130
	s_waitcnt vmcnt(8)
	v_mul_f32_e32 v17, v13, v126
	v_mul_f32_e32 v7, v14, v126
	;; [unrolled: 1-line block ×3, first 2 shown]
	v_fma_f32 v26, v18, v127, -v26
	v_fma_f32 v10, v12, v129, -v8
	;; [unrolled: 1-line block ×3, first 2 shown]
	v_fmac_f32_e32 v7, v13, v125
	v_fmac_f32_e32 v9, v11, v129
	s_waitcnt vmcnt(7)
	v_mul_f32_e32 v11, v22, v116
	s_waitcnt vmcnt(5)
	v_mul_f32_e32 v14, v15, v114
	;; [unrolled: 2-line block ×3, first 2 shown]
	v_mul_f32_e32 v13, v16, v114
	v_mul_f32_e32 v12, v21, v116
	v_fmac_f32_e32 v11, v21, v115
	v_fma_f32 v14, v16, v113, -v14
	v_mul_f32_e32 v16, v5, v122
	v_fmac_f32_e32 v17, v5, v121
	s_waitcnt vmcnt(2)
	v_mul_f32_e32 v5, v19, v124
	v_fmac_f32_e32 v13, v15, v113
	v_mul_f32_e32 v15, v20, v124
	v_fma_f32 v12, v22, v115, -v12
	s_waitcnt vmcnt(0)
	v_mul_f32_e32 v21, v24, v118
	v_mul_f32_e32 v22, v23, v118
	v_fma_f32 v18, v6, v121, -v16
	v_fma_f32 v16, v20, v123, -v5
	v_add_nc_u32_e32 v5, 0x2800, v137
	v_fmac_f32_e32 v15, v19, v123
	v_fmac_f32_e32 v21, v23, v117
	v_fma_f32 v22, v24, v117, -v22
	ds_write2_b64 v137, v[25:26], v[29:30] offset1:160
	ds_write2_b64 v4, v[9:10], v[7:8] offset0:64 offset1:224
	ds_write2_b64 v3, v[11:12], v[13:14] offset1:160
	ds_write2_b64 v2, v[17:18], v[15:16] offset0:64 offset1:224
	ds_write2_b64 v5, v[27:28], v[21:22] offset1:160
	s_and_saveexec_b32 s14, vcc_lo
	s_cbranch_execz .LBB0_3
; %bb.2:
	v_mad_u64_u32 v[0:1], null, 0xffffd620, s0, v[0:1]
	s_mulk_i32 s1, 0xd620
	global_load_dwordx2 v[6:7], v[100:101], off offset:800
	s_sub_i32 s0, s1, s0
	s_clause 0x1
	global_load_dwordx2 v[8:9], v[108:109], off offset:32
	global_load_dwordx2 v[10:11], v[108:109], off offset:1312
	v_add_nc_u32_e32 v46, 0x200, v137
	v_add_nc_u32_e32 v47, 0xc00, v137
	;; [unrolled: 1-line block ×3, first 2 shown]
	v_add_co_u32 v12, s0, v0, s12
	v_add_nc_u32_e32 v48, 0x1600, v137
	v_add_nc_u32_e32 v49, 0x2000, v137
	v_add_co_ci_u32_e64 v13, s0, s13, v1, s0
	v_add_co_u32 v14, s0, v12, s12
	global_load_dwordx2 v[0:1], v[0:1], off
	v_add_co_ci_u32_e64 v15, s0, s13, v13, s0
	v_add_co_u32 v16, s0, v14, s12
	global_load_dwordx2 v[12:13], v[12:13], off
	;; [unrolled: 3-line block ×4, first 2 shown]
	v_add_co_ci_u32_e64 v21, s0, s13, v19, s0
	v_add_co_u32 v22, s0, 0x1000, v100
	v_add_co_ci_u32_e64 v23, s0, 0, v101, s0
	v_add_co_u32 v24, s0, v20, s12
	v_add_co_ci_u32_e64 v25, s0, s13, v21, s0
	global_load_dwordx2 v[18:19], v[18:19], off
	v_add_co_u32 v26, s0, v24, s12
	v_add_co_ci_u32_e64 v27, s0, s13, v25, s0
	s_clause 0x1
	global_load_dwordx2 v[28:29], v[22:23], off offset:544
	global_load_dwordx2 v[22:23], v[22:23], off offset:1824
	global_load_dwordx2 v[20:21], v[20:21], off
	global_load_dwordx2 v[30:31], v[104:105], off offset:1056
	global_load_dwordx2 v[24:25], v[24:25], off
	global_load_dwordx2 v[32:33], v[26:27], off
	s_clause 0x1
	global_load_dwordx2 v[34:35], v[106:107], off offset:288
	global_load_dwordx2 v[36:37], v[106:107], off offset:1568
	v_add_co_u32 v26, s0, v26, s12
	v_add_co_ci_u32_e64 v27, s0, s13, v27, s0
	v_add_co_u32 v38, s0, 0x3000, v100
	v_add_co_ci_u32_e64 v39, s0, 0, v101, s0
	;; [unrolled: 2-line block ×3, first 2 shown]
	global_load_dwordx2 v[26:27], v[26:27], off
	s_clause 0x1
	global_load_dwordx2 v[42:43], v[102:103], off offset:800
	global_load_dwordx2 v[38:39], v[38:39], off offset:32
	global_load_dwordx2 v[40:41], v[40:41], off
	s_waitcnt vmcnt(16)
	v_mul_f32_e32 v44, v1, v7
	v_mul_f32_e32 v45, v0, v7
	s_waitcnt vmcnt(15)
	v_mul_f32_e32 v7, v13, v9
	v_mul_f32_e32 v9, v12, v9
	v_fmac_f32_e32 v44, v0, v6
	v_fma_f32 v45, v1, v6, -v45
	s_waitcnt vmcnt(14)
	v_mul_f32_e32 v0, v15, v11
	v_mul_f32_e32 v1, v14, v11
	v_fmac_f32_e32 v7, v12, v8
	v_fma_f32 v8, v13, v8, -v9
	v_fmac_f32_e32 v0, v14, v10
	v_fma_f32 v1, v15, v10, -v1
	s_waitcnt vmcnt(11)
	v_mul_f32_e32 v6, v16, v29
	v_mul_f32_e32 v9, v17, v29
	s_waitcnt vmcnt(10)
	v_mul_f32_e32 v11, v19, v23
	v_mul_f32_e32 v12, v18, v23
	s_waitcnt vmcnt(8)
	v_mul_f32_e32 v13, v21, v31
	v_fma_f32 v10, v17, v28, -v6
	v_mul_f32_e32 v6, v20, v31
	v_fmac_f32_e32 v9, v16, v28
	s_waitcnt vmcnt(5)
	v_mul_f32_e32 v15, v25, v35
	v_mul_f32_e32 v16, v24, v35
	s_waitcnt vmcnt(4)
	v_mul_f32_e32 v17, v33, v37
	v_fma_f32 v14, v21, v30, -v6
	v_mul_f32_e32 v6, v32, v37
	v_fmac_f32_e32 v11, v18, v22
	v_fma_f32 v12, v19, v22, -v12
	v_fmac_f32_e32 v13, v20, v30
	v_fmac_f32_e32 v15, v24, v34
	v_fma_f32 v16, v25, v34, -v16
	s_waitcnt vmcnt(2)
	v_mul_f32_e32 v19, v27, v43
	v_mul_f32_e32 v20, v26, v43
	s_waitcnt vmcnt(0)
	v_mul_f32_e32 v21, v41, v39
	v_mul_f32_e32 v22, v40, v39
	v_fmac_f32_e32 v17, v32, v36
	v_fma_f32 v18, v33, v36, -v6
	v_fmac_f32_e32 v19, v26, v42
	v_fma_f32 v20, v27, v42, -v20
	;; [unrolled: 2-line block ×3, first 2 shown]
	v_add_nc_u32_e32 v6, 0x2a00, v137
	ds_write2_b64 v46, v[44:45], v[7:8] offset0:36 offset1:196
	ds_write2_b64 v47, v[0:1], v[9:10] offset0:36 offset1:196
	;; [unrolled: 1-line block ×5, first 2 shown]
.LBB0_3:
	s_or_b32 exec_lo, exec_lo, s14
	s_waitcnt lgkmcnt(0)
	s_barrier
	buffer_gl0_inv
	ds_read2_b64 v[20:23], v137 offset1:160
	ds_read2_b64 v[32:35], v4 offset0:64 offset1:224
	ds_read2_b64 v[36:39], v3 offset1:160
	ds_read2_b64 v[28:31], v2 offset0:64 offset1:224
	ds_read2_b64 v[24:27], v5 offset1:160
                                        ; implicit-def: $vgpr6
                                        ; implicit-def: $vgpr0
                                        ; implicit-def: $vgpr8
                                        ; implicit-def: $vgpr14
                                        ; implicit-def: $vgpr18
	s_and_saveexec_b32 s0, vcc_lo
	s_cbranch_execz .LBB0_5
; %bb.4:
	v_add_nc_u32_e32 v0, 0x200, v137
	v_add_nc_u32_e32 v1, 0xc00, v137
	;; [unrolled: 1-line block ×5, first 2 shown]
	ds_read2_b64 v[16:19], v0 offset0:36 offset1:196
	ds_read2_b64 v[12:15], v1 offset0:36 offset1:196
	;; [unrolled: 1-line block ×5, first 2 shown]
.LBB0_5:
	s_or_b32 exec_lo, exec_lo, s0
	s_waitcnt lgkmcnt(1)
	v_add_f32_e32 v40, v36, v28
	v_add_f32_e32 v41, v20, v32
	s_waitcnt lgkmcnt(0)
	v_sub_f32_e32 v42, v33, v25
	v_add_f32_e32 v45, v32, v24
	v_sub_f32_e32 v43, v37, v29
	v_fma_f32 v47, -0.5, v40, v20
	v_sub_f32_e32 v40, v32, v36
	v_sub_f32_e32 v44, v24, v28
	v_add_f32_e32 v41, v41, v36
	v_fma_f32 v20, -0.5, v45, v20
	v_fmamk_f32 v48, v42, 0x3f737871, v47
	v_fmac_f32_e32 v47, 0xbf737871, v42
	v_add_f32_e32 v45, v21, v33
	v_add_f32_e32 v40, v40, v44
	;; [unrolled: 1-line block ×3, first 2 shown]
	v_fmac_f32_e32 v48, 0x3f167918, v43
	v_fmamk_f32 v49, v43, 0xbf737871, v20
	v_fmac_f32_e32 v47, 0xbf167918, v43
	v_add_f32_e32 v50, v37, v29
	v_fmac_f32_e32 v20, 0x3f737871, v43
	v_add_f32_e32 v43, v45, v37
	v_add_f32_e32 v46, v41, v24
	v_fmac_f32_e32 v48, 0x3e9e377a, v40
	v_sub_f32_e32 v41, v36, v32
	v_sub_f32_e32 v44, v28, v24
	v_fma_f32 v55, -0.5, v50, v21
	v_sub_f32_e32 v24, v32, v24
	v_fmac_f32_e32 v47, 0x3e9e377a, v40
	v_add_f32_e32 v32, v43, v29
	v_add_f32_e32 v40, v33, v25
	v_fmac_f32_e32 v49, 0x3f167918, v42
	v_fmac_f32_e32 v20, 0xbf167918, v42
	v_fmamk_f32 v51, v24, 0xbf737871, v55
	v_sub_f32_e32 v28, v36, v28
	v_sub_f32_e32 v42, v25, v29
	v_fma_f32 v53, -0.5, v40, v21
	v_add_f32_e32 v21, v32, v25
	v_fmac_f32_e32 v55, 0x3f737871, v24
	v_sub_f32_e32 v25, v29, v25
	v_add_f32_e32 v29, v22, v34
	v_sub_f32_e32 v36, v33, v37
	v_fmac_f32_e32 v51, 0xbf167918, v28
	v_fmamk_f32 v56, v28, 0x3f737871, v53
	v_sub_f32_e32 v33, v37, v33
	v_fmac_f32_e32 v55, 0x3f167918, v28
	v_fmac_f32_e32 v53, 0xbf737871, v28
	v_add_f32_e32 v28, v29, v38
	v_add_f32_e32 v29, v38, v30
	;; [unrolled: 1-line block ×3, first 2 shown]
	v_fmac_f32_e32 v56, 0xbf167918, v24
	v_add_f32_e32 v25, v33, v25
	v_fmac_f32_e32 v53, 0x3f167918, v24
	v_add_f32_e32 v24, v28, v30
	v_fma_f32 v28, -0.5, v29, v22
	v_add_f32_e32 v29, v34, v26
	v_fmac_f32_e32 v51, 0x3e9e377a, v32
	v_fmac_f32_e32 v55, 0x3e9e377a, v32
	;; [unrolled: 1-line block ×3, first 2 shown]
	v_sub_f32_e32 v32, v35, v27
	v_fmac_f32_e32 v53, 0x3e9e377a, v25
	v_sub_f32_e32 v25, v39, v31
	v_fma_f32 v22, -0.5, v29, v22
	v_add_f32_e32 v41, v41, v44
	v_fmamk_f32 v29, v32, 0x3f737871, v28
	v_sub_f32_e32 v33, v34, v38
	v_sub_f32_e32 v36, v26, v30
	v_fmac_f32_e32 v28, 0xbf737871, v32
	v_fmamk_f32 v37, v25, 0xbf737871, v22
	v_fmac_f32_e32 v22, 0x3f737871, v25
	v_fmac_f32_e32 v49, 0x3e9e377a, v41
	v_fmac_f32_e32 v20, 0x3e9e377a, v41
	v_sub_f32_e32 v40, v38, v34
	v_sub_f32_e32 v41, v30, v26
	v_fmac_f32_e32 v29, 0x3f167918, v25
	v_add_f32_e32 v33, v33, v36
	v_fmac_f32_e32 v28, 0xbf167918, v25
	v_fmac_f32_e32 v37, 0x3f167918, v32
	v_add_f32_e32 v25, v39, v31
	v_fmac_f32_e32 v22, 0xbf167918, v32
	v_add_f32_e32 v32, v35, v27
	v_add_f32_e32 v36, v40, v41
	v_fmac_f32_e32 v29, 0x3e9e377a, v33
	v_fmac_f32_e32 v28, 0x3e9e377a, v33
	v_add_f32_e32 v33, v23, v35
	v_fma_f32 v25, -0.5, v25, v23
	v_sub_f32_e32 v30, v38, v30
	v_fmac_f32_e32 v23, -0.5, v32
	v_add_f32_e32 v24, v24, v26
	v_fmac_f32_e32 v37, 0x3e9e377a, v36
	v_sub_f32_e32 v26, v34, v26
	v_fmac_f32_e32 v22, 0x3e9e377a, v36
	v_sub_f32_e32 v34, v35, v39
	v_fmamk_f32 v41, v30, 0x3f737871, v23
	v_sub_f32_e32 v35, v39, v35
	v_sub_f32_e32 v36, v31, v27
	v_fmac_f32_e32 v23, 0xbf737871, v30
	v_add_f32_e32 v32, v33, v39
	v_fmamk_f32 v33, v26, 0xbf737871, v25
	v_sub_f32_e32 v38, v27, v31
	v_add_f32_e32 v35, v35, v36
	v_fmac_f32_e32 v25, 0x3f737871, v26
	v_fmac_f32_e32 v23, 0x3f167918, v26
	;; [unrolled: 1-line block ×3, first 2 shown]
	v_add_f32_e32 v34, v34, v38
	v_add_f32_e32 v26, v32, v31
	v_fmac_f32_e32 v25, 0x3f167918, v30
	v_fmac_f32_e32 v23, 0x3e9e377a, v35
	v_mul_f32_e32 v32, 0x3e9e377a, v22
	v_fmac_f32_e32 v41, 0x3e9e377a, v35
	v_add_f32_e32 v26, v26, v27
	v_fmac_f32_e32 v25, 0x3e9e377a, v34
	v_fmac_f32_e32 v33, 0xbf167918, v30
	v_fma_f32 v27, 0x3f737871, v23, -v32
	v_mul_f32_e32 v32, 0x3f4f1bbd, v28
	v_mul_f32_e32 v23, 0x3e9e377a, v23
	v_mul_f32_e32 v31, 0x3f737871, v41
	v_fmac_f32_e32 v33, 0x3e9e377a, v34
	v_add_f32_e32 v42, v20, v27
	v_fma_f32 v32, 0x3f167918, v25, -v32
	v_mul_f32_e32 v25, 0x3f4f1bbd, v25
	v_fma_f32 v22, 0xbf737871, v22, -v23
	v_sub_f32_e32 v52, v20, v27
	v_sub_f32_e32 v27, v13, v9
	v_mul_f32_e32 v30, 0x3f4f1bbd, v29
	v_fma_f32 v23, 0xbf167918, v28, -v25
	v_add_f32_e32 v25, v0, v4
	v_fmac_f32_e32 v31, 0x3e9e377a, v37
	v_add_f32_e32 v36, v46, v24
	v_mul_f32_e32 v29, 0xbf167918, v29
	v_mul_f32_e32 v34, 0xbf737871, v37
	v_fma_f32 v20, -0.5, v25, v16
	v_add_f32_e32 v44, v47, v32
	v_add_f32_e32 v37, v21, v26
	v_sub_f32_e32 v46, v46, v24
	v_sub_f32_e32 v54, v47, v32
	;; [unrolled: 1-line block ×3, first 2 shown]
	v_fmamk_f32 v21, v27, 0x3f737871, v20
	v_sub_f32_e32 v25, v5, v1
	v_sub_f32_e32 v24, v12, v4
	v_add_f32_e32 v26, v8, v12
	v_sub_f32_e32 v28, v8, v0
	v_fmac_f32_e32 v20, 0xbf737871, v27
	v_fmac_f32_e32 v29, 0x3f4f1bbd, v33
	v_add_f32_e32 v43, v53, v22
	v_sub_f32_e32 v53, v53, v22
	v_fmac_f32_e32 v21, 0x3f167918, v25
	v_fma_f32 v22, -0.5, v26, v16
	v_add_f32_e32 v24, v28, v24
	v_fmac_f32_e32 v20, 0xbf167918, v25
	v_add_f32_e32 v26, v1, v5
	v_add_f32_e32 v40, v49, v31
	;; [unrolled: 1-line block ×3, first 2 shown]
	v_sub_f32_e32 v50, v49, v31
	v_sub_f32_e32 v49, v51, v29
	v_fmac_f32_e32 v21, 0x3e9e377a, v24
	v_fmac_f32_e32 v20, 0x3e9e377a, v24
	v_fma_f32 v24, -0.5, v26, v17
	v_sub_f32_e32 v26, v4, v12
	v_sub_f32_e32 v29, v0, v8
	v_fmac_f32_e32 v30, 0x3f167918, v33
	v_add_f32_e32 v45, v55, v23
	v_sub_f32_e32 v55, v55, v23
	v_fmamk_f32 v23, v25, 0xbf737871, v22
	v_fmac_f32_e32 v22, 0x3f737871, v25
	v_add_f32_e32 v29, v29, v26
	v_add_f32_e32 v26, v9, v13
	;; [unrolled: 1-line block ×3, first 2 shown]
	v_sub_f32_e32 v48, v48, v30
	v_sub_f32_e32 v28, v12, v8
	v_fmac_f32_e32 v23, 0x3f167918, v27
	v_sub_f32_e32 v30, v4, v0
	v_sub_f32_e32 v31, v13, v5
	;; [unrolled: 1-line block ×3, first 2 shown]
	v_fmac_f32_e32 v22, 0xbf167918, v27
	v_fma_f32 v26, -0.5, v26, v17
	v_fmac_f32_e32 v34, 0x3e9e377a, v41
	v_fmamk_f32 v25, v28, 0xbf737871, v24
	v_add_f32_e32 v31, v32, v31
	v_fmac_f32_e32 v24, 0x3f737871, v28
	v_fmac_f32_e32 v23, 0x3e9e377a, v29
	;; [unrolled: 1-line block ×3, first 2 shown]
	v_add_f32_e32 v29, v6, v2
	v_fmamk_f32 v27, v30, 0x3f737871, v26
	v_sub_f32_e32 v32, v5, v13
	v_sub_f32_e32 v33, v1, v9
	v_fmac_f32_e32 v26, 0xbf737871, v30
	v_add_f32_e32 v41, v56, v34
	v_sub_f32_e32 v51, v56, v34
	v_fmac_f32_e32 v25, 0xbf167918, v30
	v_fmac_f32_e32 v24, 0x3f167918, v30
	v_fma_f32 v35, -0.5, v29, v18
	v_sub_f32_e32 v29, v15, v11
	v_fmac_f32_e32 v27, 0xbf167918, v28
	v_add_f32_e32 v30, v33, v32
	v_fmac_f32_e32 v26, 0x3f167918, v28
	v_add_f32_e32 v28, v10, v14
	v_sub_f32_e32 v33, v14, v6
	v_sub_f32_e32 v34, v10, v2
	v_fmac_f32_e32 v25, 0x3e9e377a, v31
	v_fmac_f32_e32 v24, 0x3e9e377a, v31
	v_fmamk_f32 v31, v29, 0x3f737871, v35
	v_sub_f32_e32 v32, v7, v3
	v_fmac_f32_e32 v27, 0x3e9e377a, v30
	v_fma_f32 v56, -0.5, v28, v18
	v_fmac_f32_e32 v26, 0x3e9e377a, v30
	v_add_f32_e32 v28, v34, v33
	v_fmac_f32_e32 v35, 0xbf737871, v29
	v_sub_f32_e32 v30, v6, v14
	v_sub_f32_e32 v34, v2, v10
	v_fmac_f32_e32 v31, 0x3f167918, v32
	v_add_f32_e32 v57, v7, v3
	v_fmac_f32_e32 v35, 0xbf167918, v32
	v_fmamk_f32 v33, v32, 0xbf737871, v56
	v_add_f32_e32 v30, v34, v30
	v_add_f32_e32 v34, v11, v15
	v_fmac_f32_e32 v31, 0x3e9e377a, v28
	v_fma_f32 v57, -0.5, v57, v19
	v_sub_f32_e32 v58, v14, v10
	v_fmac_f32_e32 v35, 0x3e9e377a, v28
	v_sub_f32_e32 v28, v6, v2
	v_fma_f32 v34, -0.5, v34, v19
	v_fmac_f32_e32 v56, 0x3f737871, v32
	v_fmamk_f32 v59, v58, 0xbf737871, v57
	v_sub_f32_e32 v60, v15, v7
	v_sub_f32_e32 v61, v11, v3
	v_fmamk_f32 v62, v28, 0x3f737871, v34
	v_sub_f32_e32 v63, v7, v15
	v_sub_f32_e32 v64, v3, v11
	v_fmac_f32_e32 v34, 0xbf737871, v28
	v_fmac_f32_e32 v56, 0xbf167918, v29
	;; [unrolled: 1-line block ×4, first 2 shown]
	v_add_f32_e32 v32, v61, v60
	v_fmac_f32_e32 v62, 0xbf167918, v58
	v_add_f32_e32 v60, v64, v63
	v_fmac_f32_e32 v57, 0x3f737871, v58
	v_fmac_f32_e32 v34, 0x3f167918, v58
	;; [unrolled: 1-line block ×8, first 2 shown]
	v_mul_f32_e32 v30, 0x3e9e377a, v56
	s_load_dwordx2 s[0:1], s[4:5], 0x8
	v_mul_f32_e32 v28, 0x3f167918, v59
	v_mul_f32_e32 v29, 0x3f737871, v62
	v_fmac_f32_e32 v57, 0x3e9e377a, v32
	v_mul_f32_e32 v58, 0x3f4f1bbd, v35
	v_fma_f32 v30, 0x3f737871, v34, -v30
	v_mul_f32_e32 v34, 0x3e9e377a, v34
	v_fmac_f32_e32 v28, 0x3f4f1bbd, v31
	v_fmac_f32_e32 v29, 0x3e9e377a, v33
	v_mul_f32_e32 v32, 0xbf167918, v31
	v_mul_f32_e32 v33, 0xbf737871, v33
	v_fma_f32 v31, 0x3f167918, v57, -v58
	v_mul_f32_e32 v57, 0x3f4f1bbd, v57
	v_fma_f32 v34, 0xbf737871, v56, -v34
	v_mul_lo_u16 v56, v139, 10
	v_add_co_u32 v131, null, 0x64, v139
	v_fmac_f32_e32 v32, 0x3f4f1bbd, v59
	v_fmac_f32_e32 v33, 0x3e9e377a, v62
	v_fma_f32 v35, 0xbf167918, v35, -v57
	v_and_b32_e32 v56, 0xffff, v56
	v_sub_f32_e32 v64, v21, v28
	v_sub_f32_e32 v66, v23, v29
	;; [unrolled: 1-line block ×7, first 2 shown]
	v_lshl_add_u32 v146, v56, 3, v141
	v_sub_f32_e32 v63, v24, v35
	v_mul_u32_u24_e32 v144, 10, v131
	s_waitcnt lgkmcnt(0)
	s_barrier
	buffer_gl0_inv
	ds_write_b128 v146, v[36:39]
	ds_write_b128 v146, v[40:43] offset:16
	ds_write_b128 v146, v[44:47] offset:32
	ds_write_b128 v146, v[48:51] offset:48
	ds_write_b128 v146, v[52:55] offset:64
	s_and_saveexec_b32 s4, vcc_lo
	s_cbranch_execz .LBB0_7
; %bb.6:
	v_add_f32_e32 v13, v13, v17
	v_add_f32_e32 v15, v15, v19
	;; [unrolled: 1-line block ×8, first 2 shown]
	v_lshl_add_u32 v12, v144, 3, v141
	v_add_f32_e32 v1, v1, v5
	v_add_f32_e32 v3, v3, v7
	v_add_f32_e32 v0, v0, v4
	v_add_f32_e32 v2, v2, v6
	v_add_f32_e32 v7, v26, v34
	v_add_f32_e32 v4, v9, v1
	v_add_f32_e32 v6, v11, v3
	v_add_f32_e32 v0, v8, v0
	v_add_f32_e32 v8, v10, v2
	v_add_f32_e32 v11, v25, v32
	v_add_f32_e32 v10, v21, v28
	v_add_f32_e32 v9, v6, v4
	v_add_f32_e32 v5, v27, v33
	v_sub_f32_e32 v2, v0, v8
	v_add_f32_e32 v8, v8, v0
	v_sub_f32_e32 v3, v4, v6
	v_add_f32_e32 v6, v22, v30
	v_add_f32_e32 v4, v23, v29
	;; [unrolled: 1-line block ×4, first 2 shown]
	ds_write_b128 v12, v[8:11]
	ds_write_b128 v12, v[4:7] offset:16
	ds_write_b128 v12, v[0:3] offset:32
	;; [unrolled: 1-line block ×4, first 2 shown]
.LBB0_7:
	s_or_b32 exec_lo, exec_lo, s4
	v_and_b32_e32 v0, 0xff, v139
	s_waitcnt lgkmcnt(0)
	s_barrier
	buffer_gl0_inv
	v_mov_b32_e32 v14, 0xa0
	v_mul_lo_u16 v0, 0xcd, v0
	v_add_nc_u32_e32 v4, 0x400, v137
	v_add_nc_u32_e32 v147, 0x800, v137
	;; [unrolled: 1-line block ×4, first 2 shown]
	v_lshrrev_b16 v12, 11, v0
	v_add_nc_u32_e32 v149, 0x1c00, v137
	v_add_nc_u32_e32 v52, 0x2400, v137
	;; [unrolled: 1-line block ×4, first 2 shown]
	v_mul_lo_u16 v0, v12, 10
	v_mul_u32_u24_sdwa v46, v12, v14 dst_sel:DWORD dst_unused:UNUSED_PAD src0_sel:WORD_0 src1_sel:DWORD
	v_sub_nc_u16 v0, v139, v0
	v_and_b32_e32 v44, 0xff, v0
	v_mad_u64_u32 v[0:1], null, 0x78, v44, s[0:1]
	v_or_b32_e32 v68, v46, v44
	s_clause 0x7
	global_load_dwordx4 v[40:43], v[0:1], off
	global_load_dwordx4 v[32:35], v[0:1], off offset:16
	global_load_dwordx4 v[24:27], v[0:1], off offset:32
	;; [unrolled: 1-line block ×6, first 2 shown]
	global_load_dwordx2 v[133:134], v[0:1], off offset:112
	ds_read2_b64 v[0:3], v137 offset1:100
	ds_read2_b64 v[4:7], v4 offset0:72 offset1:172
	ds_read2_b64 v[8:11], v147 offset0:144 offset1:244
	;; [unrolled: 1-line block ×7, first 2 shown]
	v_lshl_add_u32 v145, v68, 3, v141
	s_waitcnt vmcnt(0) lgkmcnt(0)
	s_barrier
	buffer_gl0_inv
	v_mul_f32_e32 v68, v3, v41
	v_mul_f32_e32 v69, v2, v41
	;; [unrolled: 1-line block ×30, first 2 shown]
	v_fma_f32 v2, v2, v40, -v68
	v_fmac_f32_e32 v69, v3, v40
	v_fma_f32 v3, v4, v42, -v70
	v_fmac_f32_e32 v71, v5, v42
	;; [unrolled: 2-line block ×15, first 2 shown]
	v_sub_f32_e32 v9, v0, v9
	v_sub_f32_e32 v45, v1, v83
	;; [unrolled: 1-line block ×16, first 2 shown]
	v_fma_f32 v5, v5, 2.0, -v13
	v_fma_f32 v53, v75, 2.0, -v46
	v_fma_f32 v7, v7, 2.0, -v15
	v_fma_f32 v55, v79, 2.0, -v48
	v_fma_f32 v6, v6, 2.0, -v14
	v_fma_f32 v57, v77, 2.0, -v50
	v_fma_f32 v8, v8, 2.0, -v44
	v_fma_f32 v59, v81, 2.0, -v52
	v_sub_f32_e32 v46, v9, v46
	v_add_f32_e32 v13, v45, v13
	v_sub_f32_e32 v48, v11, v48
	v_add_f32_e32 v15, v47, v15
	;; [unrolled: 2-line block ×4, first 2 shown]
	v_fma_f32 v0, v0, 2.0, -v9
	v_fma_f32 v1, v1, 2.0, -v45
	;; [unrolled: 1-line block ×16, first 2 shown]
	v_fmamk_f32 v80, v48, 0x3f3504f3, v46
	v_fmamk_f32 v81, v15, 0x3f3504f3, v13
	v_sub_f32_e32 v5, v0, v5
	v_sub_f32_e32 v53, v1, v53
	;; [unrolled: 1-line block ×8, first 2 shown]
	v_fmamk_f32 v82, v52, 0x3f3504f3, v50
	v_fmamk_f32 v83, v44, 0x3f3504f3, v14
	;; [unrolled: 1-line block ×4, first 2 shown]
	v_fmac_f32_e32 v80, 0xbf3504f3, v15
	v_fmac_f32_e32 v81, 0x3f3504f3, v48
	v_fmamk_f32 v15, v12, 0xbf3504f3, v10
	v_fmamk_f32 v48, v51, 0xbf3504f3, v49
	v_fma_f32 v0, v0, 2.0, -v5
	v_fma_f32 v1, v1, 2.0, -v53
	v_fma_f32 v3, v3, 2.0, -v7
	v_fma_f32 v54, v54, 2.0, -v55
	v_fma_f32 v2, v2, 2.0, -v6
	v_fma_f32 v56, v56, 2.0, -v57
	v_fma_f32 v4, v4, 2.0, -v8
	v_fma_f32 v58, v58, 2.0, -v59
	v_sub_f32_e32 v55, v5, v55
	v_add_f32_e32 v7, v53, v7
	v_sub_f32_e32 v59, v6, v59
	v_add_f32_e32 v8, v57, v8
	v_fmac_f32_e32 v82, 0xbf3504f3, v44
	v_fmac_f32_e32 v83, 0x3f3504f3, v52
	;; [unrolled: 1-line block ×6, first 2 shown]
	v_sub_f32_e32 v44, v0, v3
	v_sub_f32_e32 v52, v1, v54
	v_fma_f32 v47, v5, 2.0, -v55
	v_fma_f32 v53, v53, 2.0, -v7
	;; [unrolled: 1-line block ×4, first 2 shown]
	v_sub_f32_e32 v3, v2, v4
	v_sub_f32_e32 v4, v56, v58
	v_fma_f32 v5, v6, 2.0, -v59
	v_fma_f32 v6, v57, 2.0, -v8
	;; [unrolled: 1-line block ×4, first 2 shown]
	v_fmamk_f32 v68, v59, 0x3f3504f3, v55
	v_fmamk_f32 v69, v8, 0x3f3504f3, v7
	;; [unrolled: 1-line block ×4, first 2 shown]
	v_fma_f32 v50, v9, 2.0, -v84
	v_fma_f32 v51, v45, 2.0, -v85
	;; [unrolled: 1-line block ×8, first 2 shown]
	v_fmamk_f32 v72, v5, 0xbf3504f3, v47
	v_fmamk_f32 v73, v6, 0xbf3504f3, v53
	;; [unrolled: 1-line block ×6, first 2 shown]
	v_add_f32_e32 v77, v52, v3
	v_fmac_f32_e32 v68, 0xbf3504f3, v8
	v_fmac_f32_e32 v69, 0x3f3504f3, v59
	;; [unrolled: 1-line block ×4, first 2 shown]
	v_fmamk_f32 v2, v45, 0xbf6c835e, v50
	v_fmamk_f32 v3, v49, 0xbf6c835e, v51
	v_sub_f32_e32 v0, v13, v0
	v_sub_f32_e32 v1, v14, v1
	v_fmac_f32_e32 v72, 0xbf3504f3, v6
	v_fmac_f32_e32 v73, 0x3f3504f3, v5
	v_fmac_f32_e32 v74, 0xbf6c835e, v12
	v_fmac_f32_e32 v75, 0x3f6c835e, v11
	v_sub_f32_e32 v76, v44, v4
	v_fmac_f32_e32 v78, 0xbf6c835e, v48
	v_fmac_f32_e32 v79, 0x3f6c835e, v15
	v_fma_f32 v6, v55, 2.0, -v68
	v_fma_f32 v7, v7, 2.0, -v69
	v_fma_f32 v8, v80, 2.0, -v70
	v_fma_f32 v9, v81, 2.0, -v71
	v_fmac_f32_e32 v2, 0xbec3ef15, v49
	v_fmac_f32_e32 v3, 0x3ec3ef15, v45
	v_fma_f32 v10, v13, 2.0, -v0
	v_fma_f32 v11, v14, 2.0, -v1
	;; [unrolled: 1-line block ×10, first 2 shown]
	ds_write2_b64 v145, v[68:69], v[70:71] offset0:140 offset1:150
	ds_write2_b64 v145, v[6:7], v[8:9] offset0:60 offset1:70
	;; [unrolled: 1-line block ×3, first 2 shown]
	v_fma_f32 v6, v50, 2.0, -v2
	v_fma_f32 v7, v51, 2.0, -v3
	ds_write2_b64 v145, v[76:77], v[78:79] offset0:120 offset1:130
	ds_write2_b64 v145, v[12:13], v[14:15] offset0:20 offset1:30
	;; [unrolled: 1-line block ×4, first 2 shown]
	ds_write2_b64 v145, v[10:11], v[6:7] offset1:10
	s_waitcnt lgkmcnt(0)
	s_barrier
	buffer_gl0_inv
	ds_read2_b64 v[80:83], v137 offset1:160
	ds_read2_b64 v[96:99], v147 offset0:64 offset1:224
	ds_read2_b64 v[92:95], v150 offset1:160
	ds_read2_b64 v[88:91], v149 offset0:64 offset1:224
	ds_read2_b64 v[84:87], v148 offset1:160
	s_and_saveexec_b32 s4, vcc_lo
	s_cbranch_execz .LBB0_9
; %bb.8:
	v_add_nc_u32_e32 v0, 0x200, v137
	v_add_nc_u32_e32 v1, 0xc00, v137
	;; [unrolled: 1-line block ×5, first 2 shown]
	ds_read2_b64 v[72:75], v0 offset0:36 offset1:196
	ds_read2_b64 v[76:79], v1 offset0:36 offset1:196
	;; [unrolled: 1-line block ×5, first 2 shown]
.LBB0_9:
	s_or_b32 exec_lo, exec_lo, s4
	v_mad_u64_u32 v[0:1], null, 0x48, v139, s[0:1]
	s_clause 0x4
	global_load_dwordx4 v[56:59], v[0:1], off offset:1200
	global_load_dwordx4 v[52:55], v[0:1], off offset:1216
	;; [unrolled: 1-line block ×4, first 2 shown]
	global_load_dwordx2 v[135:136], v[0:1], off offset:1264
	v_subrev_nc_u32_e32 v0, 60, v139
	v_cndmask_b32_e32 v0, v0, v131, vcc_lo
	v_mul_i32_i24_e32 v1, 0x48, v0
	v_mul_hi_i32_i24_e32 v0, 0x48, v0
	v_add_co_u32 v131, s0, s0, v1
	v_add_co_ci_u32_e64 v132, s0, s1, v0, s0
	s_clause 0x4
	global_load_dwordx4 v[4:7], v[131:132], off offset:1200
	global_load_dwordx4 v[0:3], v[131:132], off offset:1216
	;; [unrolled: 1-line block ×4, first 2 shown]
	global_load_dwordx2 v[131:132], v[131:132], off offset:1264
	s_waitcnt vmcnt(9) lgkmcnt(4)
	v_mul_f32_e32 v152, v83, v57
	v_mul_f32_e32 v151, v82, v57
	s_waitcnt lgkmcnt(3)
	v_mul_f32_e32 v153, v97, v59
	v_mul_f32_e32 v154, v96, v59
	s_waitcnt vmcnt(8)
	v_mul_f32_e32 v155, v99, v53
	v_mul_f32_e32 v156, v98, v53
	s_waitcnt lgkmcnt(2)
	v_mul_f32_e32 v157, v93, v55
	v_mul_f32_e32 v158, v92, v55
	s_waitcnt vmcnt(7)
	;; [unrolled: 6-line block ×4, first 2 shown]
	v_mul_f32_e32 v167, v87, v136
	v_mul_f32_e32 v168, v86, v136
	v_fma_f32 v82, v82, v56, -v152
	v_fmac_f32_e32 v151, v83, v56
	v_fma_f32 v83, v96, v58, -v153
	v_fmac_f32_e32 v154, v97, v58
	;; [unrolled: 2-line block ×9, first 2 shown]
	v_add_f32_e32 v86, v80, v83
	v_add_f32_e32 v87, v92, v88
	v_sub_f32_e32 v90, v154, v166
	v_sub_f32_e32 v94, v83, v92
	;; [unrolled: 1-line block ×3, first 2 shown]
	v_add_f32_e32 v97, v83, v84
	v_sub_f32_e32 v98, v92, v83
	v_sub_f32_e32 v99, v88, v84
	v_add_f32_e32 v152, v81, v154
	v_add_f32_e32 v153, v158, v162
	v_sub_f32_e32 v157, v154, v158
	v_sub_f32_e32 v159, v166, v162
	v_add_f32_e32 v161, v154, v166
	v_sub_f32_e32 v154, v158, v154
	v_sub_f32_e32 v163, v162, v166
	v_add_f32_e32 v165, v82, v96
	v_add_f32_e32 v167, v93, v89
	;; [unrolled: 1-line block ×6, first 2 shown]
	s_waitcnt vmcnt(4)
	v_mul_f32_e32 v183, v75, v5
	v_mul_f32_e32 v184, v74, v5
	v_mul_f32_e32 v185, v77, v7
	s_waitcnt vmcnt(3)
	v_mul_f32_e32 v187, v79, v1
	v_mul_f32_e32 v188, v78, v1
	v_mul_f32_e32 v189, v69, v3
	v_mul_f32_e32 v190, v68, v3
	s_waitcnt vmcnt(2)
	v_mul_f32_e32 v191, v71, v13
	;; [unrolled: 5-line block ×4, first 2 shown]
	v_mul_f32_e32 v200, v62, v132
	v_sub_f32_e32 v91, v158, v162
	v_sub_f32_e32 v83, v83, v84
	;; [unrolled: 1-line block ×10, first 2 shown]
	v_mul_f32_e32 v186, v76, v7
	v_add_f32_e32 v86, v86, v92
	v_fma_f32 v201, -0.5, v87, v80
	v_add_f32_e32 v87, v94, v95
	v_fma_f32 v94, -0.5, v97, v80
	v_add_f32_e32 v80, v98, v99
	v_add_f32_e32 v92, v152, v158
	v_fma_f32 v99, -0.5, v153, v81
	v_add_f32_e32 v95, v157, v159
	v_fma_f32 v98, -0.5, v161, v81
	v_add_f32_e32 v81, v154, v163
	v_add_f32_e32 v93, v165, v93
	v_fma_f32 v97, -0.5, v167, v82
	v_fmac_f32_e32 v82, -0.5, v173
	v_add_f32_e32 v154, v176, v160
	v_fma_f32 v157, -0.5, v177, v151
	v_fmac_f32_e32 v151, -0.5, v181
	v_fma_f32 v74, v74, v4, -v183
	v_fmac_f32_e32 v184, v75, v4
	v_fma_f32 v75, v76, v6, -v185
	v_fma_f32 v76, v78, v0, -v187
	v_fmac_f32_e32 v188, v79, v0
	v_fma_f32 v68, v68, v2, -v189
	v_fmac_f32_e32 v190, v69, v2
	;; [unrolled: 2-line block ×7, first 2 shown]
	v_sub_f32_e32 v169, v156, v168
	v_sub_f32_e32 v172, v85, v89
	;; [unrolled: 1-line block ×5, first 2 shown]
	v_add_f32_e32 v158, v179, v180
	v_fmac_f32_e32 v186, v77, v6
	v_add_f32_e32 v62, v86, v88
	v_fmamk_f32 v70, v91, 0xbf737871, v94
	v_fmac_f32_e32 v94, 0x3f737871, v91
	v_add_f32_e32 v66, v92, v162
	v_fmamk_f32 v71, v83, 0xbf737871, v99
	v_fmac_f32_e32 v99, 0x3f737871, v83
	v_fmamk_f32 v77, v155, 0x3f737871, v98
	v_fmac_f32_e32 v98, 0xbf737871, v155
	v_add_f32_e32 v67, v93, v89
	v_fmamk_f32 v79, v170, 0xbf737871, v82
	v_add_f32_e32 v86, v154, v164
	v_fmamk_f32 v88, v96, 0xbf737871, v157
	v_fmac_f32_e32 v157, 0x3f737871, v96
	v_fmamk_f32 v89, v178, 0x3f737871, v151
	v_fmac_f32_e32 v151, 0xbf737871, v178
	v_add_f32_e32 v92, v72, v75
	v_add_f32_e32 v93, v68, v64
	v_sub_f32_e32 v160, v75, v68
	v_sub_f32_e32 v161, v60, v64
	v_add_f32_e32 v162, v75, v60
	v_sub_f32_e32 v163, v68, v75
	v_sub_f32_e32 v164, v64, v60
	v_add_f32_e32 v177, v74, v76
	v_add_f32_e32 v179, v69, v65
	;; [unrolled: 1-line block ×9, first 2 shown]
	v_fmamk_f32 v78, v169, 0x3f737871, v97
	v_fmac_f32_e32 v97, 0xbf737871, v169
	v_fmac_f32_e32 v82, 0x3f737871, v170
	v_sub_f32_e32 v154, v186, v198
	v_add_f32_e32 v165, v73, v186
	v_add_f32_e32 v167, v190, v194
	v_sub_f32_e32 v171, v68, v64
	v_sub_f32_e32 v172, v186, v190
	v_add_f32_e32 v174, v186, v198
	v_sub_f32_e32 v175, v190, v186
	v_sub_f32_e32 v180, v188, v200
	;; [unrolled: 1-line block ×7, first 2 shown]
	v_add_f32_e32 v62, v62, v84
	v_fmac_f32_e32 v70, 0x3f167918, v90
	v_fmac_f32_e32 v94, 0xbf167918, v90
	v_add_f32_e32 v66, v66, v166
	v_fmac_f32_e32 v71, 0xbf167918, v155
	v_fmac_f32_e32 v99, 0x3f167918, v155
	;; [unrolled: 1-line block ×4, first 2 shown]
	v_add_f32_e32 v67, v67, v85
	v_fmac_f32_e32 v79, 0x3f167918, v169
	v_add_f32_e32 v84, v86, v168
	v_fmac_f32_e32 v88, 0xbf167918, v178
	v_fmac_f32_e32 v157, 0x3f167918, v178
	;; [unrolled: 1-line block ×4, first 2 shown]
	v_add_f32_e32 v68, v92, v68
	v_fma_f32 v155, -0.5, v93, v72
	v_add_f32_e32 v85, v160, v161
	v_fmac_f32_e32 v72, -0.5, v162
	v_add_f32_e32 v86, v163, v164
	v_add_f32_e32 v69, v177, v69
	v_fma_f32 v161, -0.5, v179, v74
	v_fmac_f32_e32 v74, -0.5, v185
	v_add_f32_e32 v162, v189, v192
	v_fma_f32 v163, -0.5, v191, v184
	v_fmac_f32_e32 v184, -0.5, v199
	v_fmamk_f32 v63, v90, 0x3f737871, v201
	v_fmac_f32_e32 v201, 0xbf737871, v90
	v_sub_f32_e32 v183, v61, v65
	v_sub_f32_e32 v187, v65, v61
	;; [unrolled: 1-line block ×6, first 2 shown]
	v_fmac_f32_e32 v78, 0x3f167918, v170
	v_fmac_f32_e32 v97, 0xbf167918, v170
	;; [unrolled: 1-line block ×3, first 2 shown]
	v_add_f32_e32 v90, v165, v190
	v_fma_f32 v160, -0.5, v167, v73
	v_fmac_f32_e32 v73, -0.5, v174
	v_fmac_f32_e32 v70, 0x3e9e377a, v80
	v_fmac_f32_e32 v94, 0x3e9e377a, v80
	;; [unrolled: 1-line block ×9, first 2 shown]
	v_add_f32_e32 v80, v62, v67
	v_add_f32_e32 v81, v66, v84
	v_sub_f32_e32 v83, v62, v67
	v_sub_f32_e32 v84, v66, v84
	v_add_f32_e32 v62, v68, v64
	v_add_f32_e32 v65, v69, v65
	v_fmamk_f32 v68, v180, 0x3f737871, v161
	v_fmac_f32_e32 v161, 0xbf737871, v180
	v_fmamk_f32 v69, v181, 0xbf737871, v74
	v_fmac_f32_e32 v74, 0x3f737871, v181
	v_add_f32_e32 v66, v162, v196
	v_fmamk_f32 v162, v76, 0xbf737871, v163
	v_fmac_f32_e32 v163, 0x3f737871, v76
	v_fmamk_f32 v167, v193, 0x3f737871, v184
	v_fmac_f32_e32 v184, 0xbf737871, v193
	v_sub_f32_e32 v159, v190, v194
	v_sub_f32_e32 v75, v75, v60
	;; [unrolled: 1-line block ×3, first 2 shown]
	v_fmac_f32_e32 v63, 0x3f167918, v91
	v_fmac_f32_e32 v201, 0xbf167918, v91
	v_add_f32_e32 v93, v182, v183
	v_add_f32_e32 v96, v186, v187
	;; [unrolled: 1-line block ×4, first 2 shown]
	v_fmac_f32_e32 v71, 0x3e9e377a, v95
	v_fmac_f32_e32 v99, 0x3e9e377a, v95
	v_fmac_f32_e32 v78, 0x3e9e377a, v152
	v_fmac_f32_e32 v97, 0x3e9e377a, v152
	v_fmac_f32_e32 v82, 0x3e9e377a, v153
	v_fmamk_f32 v153, v154, 0x3f737871, v155
	v_fmac_f32_e32 v155, 0xbf737871, v154
	v_add_f32_e32 v64, v90, v194
	v_fmamk_f32 v166, v171, 0x3f737871, v73
	v_fmac_f32_e32 v73, 0xbf737871, v171
	v_mul_f32_e32 v95, 0x3f167918, v88
	v_mul_f32_e32 v152, 0x3f737871, v89
	;; [unrolled: 1-line block ×5, first 2 shown]
	v_fmac_f32_e32 v68, 0x3f167918, v181
	v_fmac_f32_e32 v161, 0xbf167918, v181
	;; [unrolled: 1-line block ×8, first 2 shown]
	v_sub_f32_e32 v173, v198, v194
	v_add_f32_e32 v92, v175, v176
	v_fmac_f32_e32 v63, 0x3e9e377a, v87
	v_fmac_f32_e32 v201, 0x3e9e377a, v87
	v_fmamk_f32 v156, v159, 0xbf737871, v72
	v_fmac_f32_e32 v72, 0x3f737871, v159
	v_fmamk_f32 v158, v75, 0xbf737871, v160
	v_fmac_f32_e32 v160, 0x3f737871, v75
	v_mul_f32_e32 v67, 0x3e9e377a, v82
	v_mul_f32_e32 v87, 0x3f4f1bbd, v97
	v_mul_f32_e32 v168, 0xbf167918, v78
	v_add_f32_e32 v62, v62, v60
	v_fmac_f32_e32 v153, 0x3f167918, v159
	v_fmac_f32_e32 v155, 0xbf167918, v159
	v_add_f32_e32 v64, v64, v198
	v_fmac_f32_e32 v166, 0xbf167918, v75
	v_fmac_f32_e32 v73, 0x3f167918, v75
	v_add_f32_e32 v65, v65, v61
	v_add_f32_e32 v75, v66, v200
	v_fmac_f32_e32 v95, 0x3f4f1bbd, v78
	v_fmac_f32_e32 v152, 0x3e9e377a, v79
	;; [unrolled: 1-line block ×3, first 2 shown]
	v_fma_f32 v79, 0xbf737871, v82, -v90
	v_fma_f32 v82, 0xbf167918, v97, -v170
	v_fmac_f32_e32 v68, 0x3e9e377a, v93
	v_fmac_f32_e32 v161, 0x3e9e377a, v93
	;; [unrolled: 1-line block ×8, first 2 shown]
	v_add_f32_e32 v91, v172, v173
	v_fmac_f32_e32 v156, 0x3f167918, v154
	v_fmac_f32_e32 v72, 0xbf167918, v154
	;; [unrolled: 1-line block ×4, first 2 shown]
	v_fma_f32 v76, 0x3f737871, v151, -v67
	v_fma_f32 v78, 0x3f167918, v157, -v87
	v_fmac_f32_e32 v168, 0x3f4f1bbd, v88
	v_fmac_f32_e32 v153, 0x3e9e377a, v85
	;; [unrolled: 1-line block ×5, first 2 shown]
	v_add_f32_e32 v60, v62, v65
	v_add_f32_e32 v61, v64, v75
	v_sub_f32_e32 v66, v62, v65
	v_sub_f32_e32 v67, v64, v75
	v_add_f32_e32 v85, v63, v95
	v_add_f32_e32 v87, v70, v152
	;; [unrolled: 1-line block ×5, first 2 shown]
	v_sub_f32_e32 v93, v63, v95
	v_sub_f32_e32 v95, v70, v152
	;; [unrolled: 1-line block ×5, first 2 shown]
	v_mul_f32_e32 v75, 0x3f167918, v162
	v_mul_f32_e32 v77, 0x3f737871, v167
	;; [unrolled: 1-line block ×8, first 2 shown]
	v_fmac_f32_e32 v156, 0x3e9e377a, v86
	v_fmac_f32_e32 v72, 0x3e9e377a, v86
	;; [unrolled: 1-line block ×6, first 2 shown]
	v_fma_f32 v99, 0x3f737871, v184, -v62
	v_fma_f32 v154, 0x3f167918, v163, -v63
	v_fmac_f32_e32 v79, 0x3f4f1bbd, v162
	v_fmac_f32_e32 v82, 0x3e9e377a, v167
	v_fma_f32 v157, 0xbf737871, v74, -v64
	v_fma_f32 v159, 0xbf167918, v161, -v65
	v_add_f32_e32 v89, v94, v76
	v_add_f32_e32 v91, v201, v78
	;; [unrolled: 1-line block ×3, first 2 shown]
	v_sub_f32_e32 v97, v94, v76
	v_sub_f32_e32 v151, v201, v78
	;; [unrolled: 1-line block ×3, first 2 shown]
	v_add_f32_e32 v62, v153, v75
	v_add_f32_e32 v68, v156, v77
	;; [unrolled: 1-line block ×8, first 2 shown]
	v_sub_f32_e32 v76, v153, v75
	v_sub_f32_e32 v78, v156, v77
	;; [unrolled: 1-line block ×8, first 2 shown]
	ds_write2_b64 v137, v[80:81], v[85:86] offset1:160
	ds_write2_b64 v147, v[87:88], v[89:90] offset0:64 offset1:224
	ds_write2_b64 v150, v[91:92], v[83:84] offset1:160
	ds_write2_b64 v149, v[93:94], v[95:96] offset0:64 offset1:224
	ds_write2_b64 v148, v[97:98], v[151:152] offset1:160
	s_and_saveexec_b32 s0, vcc_lo
	s_cbranch_execz .LBB0_11
; %bb.10:
	v_add_nc_u32_e32 v80, 0x200, v137
	v_add_nc_u32_e32 v81, 0xc00, v137
	;; [unrolled: 1-line block ×5, first 2 shown]
	ds_write2_b64 v80, v[60:61], v[62:63] offset0:36 offset1:196
	ds_write2_b64 v81, v[68:69], v[70:71] offset0:36 offset1:196
	ds_write2_b64 v82, v[64:65], v[66:67] offset0:36 offset1:196
	ds_write2_b64 v83, v[76:77], v[78:79] offset0:36 offset1:196
	ds_write2_b64 v84, v[72:73], v[74:75] offset0:36 offset1:196
.LBB0_11:
	s_or_b32 exec_lo, exec_lo, s0
	v_lshlrev_b32_e32 v82, 3, v139
	s_add_u32 s4, s6, 0x3200
	s_addc_u32 s5, s7, 0
	s_waitcnt lgkmcnt(0)
	s_barrier
	v_add_co_u32 v80, s0, s4, v82
	v_add_co_ci_u32_e64 v81, null, s5, 0, s0
	buffer_gl0_inv
	v_add_co_u32 v84, s0, 0x800, v80
	v_add_co_ci_u32_e64 v85, s0, 0, v81, s0
	v_add_co_u32 v88, s0, 0x1800, v80
	v_add_co_ci_u32_e64 v89, s0, 0, v81, s0
	s_clause 0x2
	global_load_dwordx2 v[97:98], v82, s[4:5]
	global_load_dwordx2 v[163:164], v82, s[4:5] offset:1280
	global_load_dwordx2 v[165:166], v143, s[4:5]
	v_add_co_u32 v86, s0, 0x2000, v80
	global_load_dwordx2 v[167:168], v142, s[4:5]
	v_add_co_ci_u32_e64 v87, s0, 0, v81, s0
	v_add_co_u32 v82, s0, 0x2800, v80
	v_add_co_ci_u32_e64 v83, s0, 0, v81, s0
	s_clause 0x5
	global_load_dwordx2 v[169:170], v[84:85], off offset:512
	global_load_dwordx2 v[171:172], v[84:85], off offset:1792
	;; [unrolled: 1-line block ×6, first 2 shown]
	v_add_nc_u32_e32 v90, 0x1400, v137
	v_add_nc_u32_e32 v142, 0x2800, v137
	;; [unrolled: 1-line block ×4, first 2 shown]
	ds_read2_b64 v[93:96], v90 offset1:160
	ds_read2_b64 v[147:150], v137 offset1:160
	;; [unrolled: 1-line block ×3, first 2 shown]
	ds_read2_b64 v[155:158], v92 offset0:64 offset1:224
	ds_read2_b64 v[159:162], v91 offset0:64 offset1:224
	s_waitcnt vmcnt(9) lgkmcnt(3)
	v_mul_f32_e32 v181, v148, v98
	s_waitcnt vmcnt(8)
	v_mul_f32_e32 v183, v150, v164
	s_waitcnt vmcnt(7)
	v_mul_f32_e32 v143, v94, v166
	v_mul_f32_e32 v99, v93, v166
	;; [unrolled: 1-line block ×4, first 2 shown]
	s_waitcnt vmcnt(6) lgkmcnt(2)
	v_mul_f32_e32 v184, v152, v168
	v_mul_f32_e32 v164, v151, v168
	v_fma_f32 v98, v93, v165, -v143
	v_fmac_f32_e32 v99, v94, v165
	v_fmac_f32_e32 v166, v148, v97
	s_waitcnt vmcnt(5) lgkmcnt(1)
	v_mul_f32_e32 v93, v156, v170
	v_mul_f32_e32 v94, v155, v170
	s_waitcnt vmcnt(4)
	v_mul_f32_e32 v143, v158, v172
	v_mul_f32_e32 v148, v157, v172
	v_fma_f32 v165, v147, v97, -v181
	v_fma_f32 v181, v149, v163, -v183
	v_fmac_f32_e32 v182, v150, v163
	s_waitcnt vmcnt(3)
	v_mul_f32_e32 v149, v96, v174
	v_mul_f32_e32 v150, v95, v174
	v_fma_f32 v163, v151, v167, -v184
	v_fmac_f32_e32 v164, v152, v167
	s_waitcnt vmcnt(2) lgkmcnt(0)
	v_mul_f32_e32 v151, v160, v176
	v_mul_f32_e32 v97, v159, v176
	s_waitcnt vmcnt(1)
	v_mul_f32_e32 v167, v162, v178
	v_mul_f32_e32 v152, v161, v178
	s_waitcnt vmcnt(0)
	v_mul_f32_e32 v170, v154, v180
	v_mul_f32_e32 v168, v153, v180
	v_fma_f32 v93, v155, v169, -v93
	v_fmac_f32_e32 v94, v156, v169
	v_fma_f32 v147, v157, v171, -v143
	v_fmac_f32_e32 v148, v158, v171
	;; [unrolled: 2-line block ×6, first 2 shown]
	ds_write2_b64 v137, v[165:166], v[181:182] offset1:160
	ds_write2_b64 v92, v[93:94], v[147:148] offset0:64 offset1:224
	ds_write2_b64 v90, v[98:99], v[149:150] offset1:160
	ds_write2_b64 v91, v[96:97], v[151:152] offset0:64 offset1:224
	ds_write2_b64 v142, v[163:164], v[167:168] offset1:160
	s_and_saveexec_b32 s1, vcc_lo
	s_cbranch_execz .LBB0_13
; %bb.12:
	s_clause 0x5
	global_load_dwordx2 v[97:98], v[80:81], off offset:800
	global_load_dwordx2 v[155:156], v[84:85], off offset:32
	global_load_dwordx2 v[157:158], v[84:85], off offset:1312
	global_load_dwordx2 v[88:89], v[88:89], off offset:1056
	global_load_dwordx2 v[159:160], v[86:87], off offset:288
	global_load_dwordx2 v[161:162], v[86:87], off offset:1568
	v_add_co_u32 v84, s0, 0x1000, v80
	v_add_co_ci_u32_e64 v85, s0, 0, v81, s0
	v_add_co_u32 v80, s0, 0x3000, v80
	v_add_co_ci_u32_e64 v81, s0, 0, v81, s0
	s_clause 0x3
	global_load_dwordx2 v[163:164], v[84:85], off offset:544
	global_load_dwordx2 v[165:166], v[84:85], off offset:1824
	;; [unrolled: 1-line block ×4, first 2 shown]
	v_add_nc_u32_e32 v143, 0x200, v137
	v_add_nc_u32_e32 v173, 0xc00, v137
	;; [unrolled: 1-line block ×5, first 2 shown]
	ds_read2_b64 v[80:83], v143 offset0:36 offset1:196
	ds_read2_b64 v[84:87], v173 offset0:36 offset1:196
	;; [unrolled: 1-line block ×5, first 2 shown]
	s_waitcnt vmcnt(9) lgkmcnt(4)
	v_mul_f32_e32 v171, v81, v98
	v_mul_f32_e32 v99, v80, v98
	s_waitcnt vmcnt(8)
	v_mul_f32_e32 v177, v83, v156
	v_mul_f32_e32 v172, v82, v156
	s_waitcnt vmcnt(7) lgkmcnt(3)
	v_mul_f32_e32 v178, v85, v158
	v_mul_f32_e32 v156, v84, v158
	s_waitcnt vmcnt(6) lgkmcnt(2)
	;; [unrolled: 3-line block ×3, first 2 shown]
	v_mul_f32_e32 v180, v148, v160
	v_mul_f32_e32 v89, v147, v160
	s_waitcnt vmcnt(4)
	v_mul_f32_e32 v181, v150, v162
	v_mul_f32_e32 v160, v149, v162
	v_fma_f32 v98, v80, v97, -v171
	v_fmac_f32_e32 v99, v81, v97
	s_waitcnt vmcnt(3)
	v_mul_f32_e32 v80, v87, v164
	v_mul_f32_e32 v81, v86, v164
	v_fma_f32 v171, v82, v155, -v177
	v_fmac_f32_e32 v172, v83, v155
	;; [unrolled: 5-line block ×3, first 2 shown]
	v_fma_f32 v157, v95, v88, -v179
	v_fmac_f32_e32 v158, v96, v88
	s_waitcnt vmcnt(1) lgkmcnt(0)
	v_mul_f32_e32 v84, v152, v168
	v_mul_f32_e32 v85, v151, v168
	s_waitcnt vmcnt(0)
	v_mul_f32_e32 v96, v154, v170
	v_mul_f32_e32 v95, v153, v170
	v_fma_f32 v88, v147, v159, -v180
	v_fmac_f32_e32 v89, v148, v159
	v_fma_f32 v159, v149, v161, -v181
	v_fmac_f32_e32 v160, v150, v161
	;; [unrolled: 2-line block ×6, first 2 shown]
	ds_write2_b64 v143, v[98:99], v[171:172] offset0:36 offset1:196
	ds_write2_b64 v175, v[88:89], v[159:160] offset0:36 offset1:196
	;; [unrolled: 1-line block ×5, first 2 shown]
.LBB0_13:
	s_or_b32 exec_lo, exec_lo, s1
	s_waitcnt lgkmcnt(0)
	s_barrier
	buffer_gl0_inv
	ds_read2_b64 v[80:83], v137 offset1:160
	ds_read2_b64 v[96:99], v92 offset0:64 offset1:224
	ds_read2_b64 v[92:95], v90 offset1:160
	ds_read2_b64 v[88:91], v91 offset0:64 offset1:224
	ds_read2_b64 v[84:87], v142 offset1:160
	s_and_saveexec_b32 s0, vcc_lo
	s_cbranch_execz .LBB0_15
; %bb.14:
	v_add_nc_u32_e32 v60, 0x200, v137
	v_add_nc_u32_e32 v64, 0xc00, v137
	;; [unrolled: 1-line block ×5, first 2 shown]
	ds_read2_b64 v[60:63], v60 offset0:36 offset1:196
	ds_read2_b64 v[68:71], v64 offset0:36 offset1:196
	;; [unrolled: 1-line block ×5, first 2 shown]
.LBB0_15:
	s_or_b32 exec_lo, exec_lo, s0
	s_waitcnt lgkmcnt(1)
	v_add_f32_e32 v142, v92, v88
	v_add_f32_e32 v143, v80, v96
	s_waitcnt lgkmcnt(0)
	v_sub_f32_e32 v147, v97, v85
	v_add_f32_e32 v151, v96, v84
	v_sub_f32_e32 v148, v93, v89
	v_fma_f32 v142, -0.5, v142, v80
	v_add_f32_e32 v143, v143, v92
	v_sub_f32_e32 v149, v96, v92
	v_fma_f32 v80, -0.5, v151, v80
	v_add_f32_e32 v151, v81, v97
	v_fmamk_f32 v160, v147, 0xbf737871, v142
	v_fmac_f32_e32 v142, 0x3f737871, v147
	v_sub_f32_e32 v150, v84, v88
	v_add_f32_e32 v143, v143, v88
	v_fmamk_f32 v162, v148, 0x3f737871, v80
	v_fmac_f32_e32 v160, 0xbf167918, v148
	v_fmac_f32_e32 v142, 0x3f167918, v148
	v_add_f32_e32 v153, v93, v89
	v_fmac_f32_e32 v80, 0xbf737871, v148
	v_add_f32_e32 v148, v151, v93
	v_sub_f32_e32 v152, v92, v96
	v_add_f32_e32 v149, v149, v150
	v_sub_f32_e32 v150, v88, v84
	v_add_f32_e32 v143, v143, v84
	v_fma_f32 v168, -0.5, v153, v81
	v_sub_f32_e32 v84, v96, v84
	v_add_f32_e32 v96, v148, v89
	v_add_f32_e32 v148, v97, v85
	v_fmac_f32_e32 v160, 0x3e9e377a, v149
	v_fmac_f32_e32 v162, 0xbf167918, v147
	;; [unrolled: 1-line block ×4, first 2 shown]
	v_fmamk_f32 v147, v84, 0x3f737871, v168
	v_sub_f32_e32 v88, v92, v88
	v_sub_f32_e32 v92, v97, v93
	;; [unrolled: 1-line block ×3, first 2 shown]
	v_fma_f32 v81, -0.5, v148, v81
	v_add_f32_e32 v96, v96, v85
	v_fmac_f32_e32 v168, 0xbf737871, v84
	v_sub_f32_e32 v93, v93, v97
	v_sub_f32_e32 v85, v89, v85
	v_add_f32_e32 v89, v94, v90
	v_add_f32_e32 v150, v152, v150
	v_fmac_f32_e32 v147, 0x3f167918, v88
	v_add_f32_e32 v92, v92, v149
	v_fmamk_f32 v148, v88, 0xbf737871, v81
	v_fmac_f32_e32 v168, 0xbf167918, v88
	v_add_f32_e32 v85, v93, v85
	v_fmac_f32_e32 v81, 0x3f737871, v88
	v_add_f32_e32 v88, v82, v98
	v_fma_f32 v89, -0.5, v89, v82
	v_sub_f32_e32 v93, v99, v87
	v_fmac_f32_e32 v162, 0x3e9e377a, v150
	v_fmac_f32_e32 v80, 0x3e9e377a, v150
	;; [unrolled: 1-line block ×6, first 2 shown]
	v_add_f32_e32 v84, v88, v94
	v_fmamk_f32 v88, v93, 0xbf737871, v89
	v_sub_f32_e32 v92, v95, v91
	v_sub_f32_e32 v97, v98, v94
	;; [unrolled: 1-line block ×3, first 2 shown]
	v_fmac_f32_e32 v89, 0x3f737871, v93
	v_add_f32_e32 v150, v98, v86
	v_fmac_f32_e32 v88, 0xbf167918, v92
	v_fmac_f32_e32 v148, 0x3e9e377a, v85
	v_add_f32_e32 v97, v97, v149
	v_fmac_f32_e32 v89, 0x3f167918, v92
	v_fma_f32 v82, -0.5, v150, v82
	v_add_f32_e32 v84, v84, v90
	v_fmac_f32_e32 v81, 0x3e9e377a, v85
	v_fmac_f32_e32 v88, 0x3e9e377a, v97
	;; [unrolled: 1-line block ×3, first 2 shown]
	v_fmamk_f32 v97, v92, 0x3f737871, v82
	v_fmac_f32_e32 v82, 0xbf737871, v92
	v_add_f32_e32 v85, v95, v91
	v_sub_f32_e32 v149, v94, v98
	v_sub_f32_e32 v150, v90, v86
	v_fmac_f32_e32 v97, 0xbf167918, v93
	v_fmac_f32_e32 v82, 0x3f167918, v93
	v_add_f32_e32 v93, v99, v87
	v_add_f32_e32 v84, v84, v86
	v_fma_f32 v85, -0.5, v85, v83
	v_sub_f32_e32 v86, v98, v86
	v_add_f32_e32 v92, v149, v150
	v_sub_f32_e32 v90, v94, v90
	v_add_f32_e32 v94, v83, v99
	v_fmac_f32_e32 v83, -0.5, v93
	v_fmamk_f32 v98, v86, 0x3f737871, v85
	v_fmac_f32_e32 v97, 0x3e9e377a, v92
	v_fmac_f32_e32 v82, 0x3e9e377a, v92
	v_sub_f32_e32 v92, v99, v95
	v_sub_f32_e32 v93, v87, v91
	v_fmamk_f32 v150, v90, 0xbf737871, v83
	v_sub_f32_e32 v99, v95, v99
	v_sub_f32_e32 v149, v91, v87
	v_fmac_f32_e32 v83, 0x3f737871, v90
	v_fmac_f32_e32 v85, 0xbf737871, v86
	v_add_f32_e32 v92, v92, v93
	v_fmac_f32_e32 v150, 0x3f167918, v86
	v_add_f32_e32 v93, v99, v149
	;; [unrolled: 2-line block ×3, first 2 shown]
	v_fmac_f32_e32 v85, 0xbf167918, v90
	v_fmac_f32_e32 v98, 0x3f167918, v90
	;; [unrolled: 1-line block ×4, first 2 shown]
	v_add_f32_e32 v86, v86, v91
	v_fmac_f32_e32 v85, 0x3e9e377a, v92
	v_fmac_f32_e32 v98, 0x3e9e377a, v92
	v_mul_f32_e32 v91, 0xbf737871, v150
	v_mul_f32_e32 v92, 0xbf737871, v83
	v_add_f32_e32 v86, v86, v87
	v_mul_f32_e32 v87, 0xbf167918, v85
	v_mul_f32_e32 v83, 0xbe9e377a, v83
	v_mul_f32_e32 v90, 0xbf167918, v98
	v_fmac_f32_e32 v92, 0xbe9e377a, v82
	v_mul_f32_e32 v93, 0x3f167918, v88
	v_fmac_f32_e32 v87, 0xbf4f1bbd, v89
	v_fmac_f32_e32 v83, 0x3f737871, v82
	v_add_f32_e32 v82, v76, v64
	v_fmac_f32_e32 v90, 0x3f4f1bbd, v88
	v_mul_f32_e32 v85, 0xbf4f1bbd, v85
	v_add_f32_e32 v157, v142, v87
	v_sub_f32_e32 v167, v142, v87
	v_fma_f32 v88, -0.5, v82, v60
	v_sub_f32_e32 v82, v69, v73
	v_add_f32_e32 v87, v72, v68
	v_fmac_f32_e32 v91, 0x3e9e377a, v97
	v_add_f32_e32 v149, v143, v84
	v_add_f32_e32 v151, v160, v90
	;; [unrolled: 1-line block ×3, first 2 shown]
	v_mul_f32_e32 v94, 0x3e9e377a, v150
	v_add_f32_e32 v150, v96, v86
	v_fmac_f32_e32 v85, 0x3f167918, v89
	v_add_f32_e32 v156, v81, v83
	v_sub_f32_e32 v159, v143, v84
	v_sub_f32_e32 v161, v160, v90
	v_sub_f32_e32 v165, v80, v92
	v_sub_f32_e32 v160, v96, v86
	v_fmamk_f32 v89, v82, 0xbf737871, v88
	v_sub_f32_e32 v80, v65, v77
	v_sub_f32_e32 v84, v68, v64
	;; [unrolled: 1-line block ×4, first 2 shown]
	v_fmac_f32_e32 v88, 0x3f737871, v82
	v_fma_f32 v90, -0.5, v87, v60
	v_add_f32_e32 v81, v77, v65
	v_add_f32_e32 v153, v162, v91
	v_fmac_f32_e32 v93, 0x3f4f1bbd, v98
	v_add_f32_e32 v158, v168, v85
	v_sub_f32_e32 v163, v162, v91
	v_fmac_f32_e32 v89, 0xbf167918, v80
	v_add_f32_e32 v84, v86, v84
	v_sub_f32_e32 v168, v168, v85
	v_fmac_f32_e32 v88, 0x3f167918, v80
	v_fmamk_f32 v91, v80, 0x3f737871, v90
	v_sub_f32_e32 v83, v64, v68
	v_sub_f32_e32 v85, v76, v72
	v_fma_f32 v92, -0.5, v81, v61
	v_sub_f32_e32 v81, v68, v72
	v_fmac_f32_e32 v90, 0xbf737871, v80
	v_fmac_f32_e32 v94, 0x3f737871, v97
	v_add_f32_e32 v152, v147, v93
	v_sub_f32_e32 v162, v147, v93
	v_fmac_f32_e32 v89, 0x3e9e377a, v84
	v_fmac_f32_e32 v88, 0x3e9e377a, v84
	;; [unrolled: 1-line block ×3, first 2 shown]
	v_add_f32_e32 v83, v85, v83
	v_fmamk_f32 v93, v81, 0x3f737871, v92
	v_sub_f32_e32 v80, v64, v76
	v_sub_f32_e32 v84, v69, v65
	;; [unrolled: 1-line block ×3, first 2 shown]
	v_fmac_f32_e32 v92, 0xbf737871, v81
	v_fmac_f32_e32 v90, 0x3f167918, v82
	v_add_f32_e32 v82, v73, v69
	v_add_f32_e32 v154, v148, v94
	v_sub_f32_e32 v164, v148, v94
	v_fmac_f32_e32 v93, 0x3f167918, v80
	v_add_f32_e32 v84, v85, v84
	v_fmac_f32_e32 v92, 0xbf167918, v80
	v_fma_f32 v94, -0.5, v82, v61
	v_fmac_f32_e32 v91, 0x3e9e377a, v83
	v_fmac_f32_e32 v90, 0x3e9e377a, v83
	;; [unrolled: 1-line block ×4, first 2 shown]
	v_fmamk_f32 v95, v80, 0xbf737871, v94
	v_sub_f32_e32 v83, v65, v69
	v_sub_f32_e32 v84, v77, v73
	v_fmac_f32_e32 v94, 0x3f737871, v80
	v_sub_f32_e32 v86, v70, v66
	v_fmac_f32_e32 v95, 0x3f167918, v81
	v_sub_f32_e32 v87, v74, v78
	v_add_f32_e32 v83, v84, v83
	v_fmac_f32_e32 v94, 0xbf167918, v81
	v_add_f32_e32 v82, v66, v78
	v_sub_f32_e32 v96, v78, v74
	v_add_f32_e32 v81, v74, v70
	v_fmac_f32_e32 v95, 0x3e9e377a, v83
	v_fmac_f32_e32 v94, 0x3e9e377a, v83
	v_add_f32_e32 v83, v87, v86
	v_sub_f32_e32 v87, v66, v70
	v_fma_f32 v80, -0.5, v82, v62
	v_sub_f32_e32 v82, v71, v75
	v_add_f32_e32 v97, v67, v79
	v_sub_f32_e32 v85, v67, v79
	v_add_f32_e32 v87, v96, v87
	v_add_f32_e32 v96, v75, v71
	v_fmamk_f32 v84, v82, 0xbf737871, v80
	v_fma_f32 v81, -0.5, v81, v62
	v_fmac_f32_e32 v80, 0x3f737871, v82
	v_fma_f32 v148, -0.5, v97, v63
	v_sub_f32_e32 v97, v70, v74
	v_sub_f32_e32 v98, v66, v78
	v_fma_f32 v147, -0.5, v96, v63
	v_fmac_f32_e32 v84, 0xbf167918, v85
	v_fmamk_f32 v86, v85, 0x3f737871, v81
	v_fmac_f32_e32 v80, 0x3f167918, v85
	v_fmac_f32_e32 v81, 0xbf737871, v85
	v_fmamk_f32 v85, v97, 0x3f737871, v148
	v_sub_f32_e32 v96, v71, v67
	v_sub_f32_e32 v99, v75, v79
	v_fmamk_f32 v143, v98, 0xbf737871, v147
	v_sub_f32_e32 v142, v67, v71
	v_sub_f32_e32 v169, v79, v75
	v_fmac_f32_e32 v147, 0x3f737871, v98
	v_fmac_f32_e32 v148, 0xbf737871, v97
	;; [unrolled: 1-line block ×3, first 2 shown]
	v_add_f32_e32 v99, v99, v96
	v_fmac_f32_e32 v143, 0x3f167918, v97
	v_add_f32_e32 v96, v169, v142
	v_fmac_f32_e32 v147, 0xbf167918, v97
	v_fmac_f32_e32 v148, 0xbf167918, v98
	;; [unrolled: 1-line block ×11, first 2 shown]
	v_mul_f32_e32 v96, 0xbf167918, v85
	v_mul_f32_e32 v97, 0xbf737871, v143
	;; [unrolled: 1-line block ×3, first 2 shown]
	v_fmac_f32_e32 v80, 0x3e9e377a, v83
	v_mul_f32_e32 v99, 0xbf167918, v148
	v_mul_f32_e32 v142, 0x3f4f1bbd, v85
	;; [unrolled: 1-line block ×5, first 2 shown]
	v_fmac_f32_e32 v96, 0x3f4f1bbd, v84
	v_fmac_f32_e32 v97, 0x3e9e377a, v86
	;; [unrolled: 1-line block ×8, first 2 shown]
	v_sub_f32_e32 v84, v89, v96
	v_sub_f32_e32 v86, v91, v97
	;; [unrolled: 1-line block ×8, first 2 shown]
	s_barrier
	buffer_gl0_inv
	ds_write_b128 v146, v[149:152]
	ds_write_b128 v146, v[153:156] offset:16
	ds_write_b128 v146, v[157:160] offset:32
	;; [unrolled: 1-line block ×4, first 2 shown]
	s_and_saveexec_b32 s0, vcc_lo
	s_cbranch_execz .LBB0_17
; %bb.16:
	v_add_f32_e32 v61, v69, v61
	v_add_f32_e32 v63, v71, v63
	;; [unrolled: 1-line block ×19, first 2 shown]
	v_lshl_add_u32 v72, v144, 3, v141
	v_add_f32_e32 v65, v95, v143
	v_add_f32_e32 v69, v66, v64
	v_sub_f32_e32 v63, v64, v66
	v_sub_f32_e32 v62, v60, v68
	v_add_f32_e32 v68, v68, v60
	v_add_f32_e32 v66, v90, v98
	;; [unrolled: 1-line block ×5, first 2 shown]
	ds_write_b128 v72, v[68:71]
	ds_write_b128 v72, v[64:67] offset:16
	ds_write_b128 v72, v[60:63] offset:32
	;; [unrolled: 1-line block ×4, first 2 shown]
.LBB0_17:
	s_or_b32 exec_lo, exec_lo, s0
	s_waitcnt lgkmcnt(0)
	s_barrier
	buffer_gl0_inv
	ds_read2_b64 v[60:63], v137 offset1:100
	v_add_nc_u32_e32 v65, 0x400, v137
	v_add_nc_u32_e32 v64, 0x800, v137
	ds_read2_b64 v[67:70], v65 offset0:72 offset1:172
	ds_read2_b64 v[71:74], v64 offset0:144 offset1:244
	v_add_nc_u32_e32 v75, 0x1000, v137
	v_add_nc_u32_e32 v79, 0x1800, v137
	ds_read2_b64 v[75:78], v75 offset0:88 offset1:188
	ds_read2_b64 v[88:91], v79 offset0:32 offset1:132
	v_add_nc_u32_e32 v65, 0x1c00, v137
	v_add_nc_u32_e32 v96, 0x2400, v137
	;; [unrolled: 1-line block ×3, first 2 shown]
	ds_read2_b64 v[92:95], v65 offset0:104 offset1:204
	ds_read2_b64 v[96:99], v96 offset0:48 offset1:148
	;; [unrolled: 1-line block ×3, first 2 shown]
	s_waitcnt lgkmcnt(0)
	v_mul_f32_e32 v79, v41, v63
	v_mul_f32_e32 v41, v41, v62
	s_barrier
	buffer_gl0_inv
	v_fmac_f32_e32 v79, v40, v62
	v_mul_f32_e32 v62, v33, v70
	v_mul_f32_e32 v33, v33, v69
	v_fma_f32 v40, v40, v63, -v41
	v_mul_f32_e32 v41, v43, v68
	v_mul_f32_e32 v43, v43, v67
	v_mul_f32_e32 v63, v35, v72
	v_mul_f32_e32 v35, v35, v71
	v_fmac_f32_e32 v62, v32, v69
	v_fma_f32 v32, v32, v70, -v33
	v_mul_f32_e32 v33, v25, v74
	v_mul_f32_e32 v25, v25, v73
	v_fmac_f32_e32 v41, v42, v67
	v_fma_f32 v42, v42, v68, -v43
	v_fmac_f32_e32 v63, v34, v71
	v_fma_f32 v34, v34, v72, -v35
	v_mul_f32_e32 v35, v27, v76
	v_fmac_f32_e32 v33, v24, v73
	v_fma_f32 v24, v24, v74, -v25
	v_mul_f32_e32 v25, v27, v75
	v_mul_f32_e32 v27, v17, v78
	v_mul_f32_e32 v17, v17, v77
	v_mul_f32_e32 v43, v19, v89
	v_mul_f32_e32 v19, v19, v88
	v_fmac_f32_e32 v35, v26, v75
	v_fma_f32 v25, v26, v76, -v25
	v_fmac_f32_e32 v27, v16, v77
	v_fma_f32 v16, v16, v78, -v17
	v_fmac_f32_e32 v43, v18, v88
	v_mul_f32_e32 v17, v37, v91
	v_mul_f32_e32 v26, v37, v90
	v_fma_f32 v18, v18, v89, -v19
	v_mul_f32_e32 v19, v39, v93
	v_mul_f32_e32 v37, v39, v92
	v_fmac_f32_e32 v17, v36, v90
	v_fma_f32 v26, v36, v91, -v26
	v_mul_f32_e32 v36, v29, v95
	v_fmac_f32_e32 v19, v38, v92
	v_fma_f32 v37, v38, v93, -v37
	v_mul_f32_e32 v29, v29, v94
	v_mul_f32_e32 v38, v31, v97
	;; [unrolled: 1-line block ×5, first 2 shown]
	v_fmac_f32_e32 v36, v28, v94
	v_fma_f32 v28, v28, v95, -v29
	v_fmac_f32_e32 v38, v30, v96
	v_fma_f32 v29, v30, v97, -v31
	v_fmac_f32_e32 v39, v20, v98
	v_mul_f32_e32 v30, v23, v142
	v_mul_f32_e32 v23, v23, v141
	v_fma_f32 v20, v20, v99, -v21
	v_mul_f32_e32 v21, v134, v144
	v_mul_f32_e32 v31, v134, v143
	v_fmac_f32_e32 v30, v22, v141
	v_fma_f32 v22, v22, v142, -v23
	v_sub_f32_e32 v23, v60, v43
	v_fmac_f32_e32 v21, v133, v143
	v_sub_f32_e32 v18, v61, v18
	v_sub_f32_e32 v38, v63, v38
	;; [unrolled: 1-line block ×11, first 2 shown]
	v_fma_f32 v31, v133, v144, -v31
	v_fma_f32 v43, v60, 2.0, -v23
	v_fma_f32 v60, v61, 2.0, -v18
	;; [unrolled: 1-line block ×10, first 2 shown]
	v_add_f32_e32 v29, v23, v29
	v_sub_f32_e32 v38, v18, v38
	v_add_f32_e32 v22, v19, v22
	v_sub_f32_e32 v30, v37, v30
	v_fma_f32 v41, v41, 2.0, -v19
	v_fma_f32 v42, v42, 2.0, -v37
	v_sub_f32_e32 v20, v24, v20
	v_sub_f32_e32 v31, v16, v31
	;; [unrolled: 1-line block ×4, first 2 shown]
	v_fma_f32 v23, v23, 2.0, -v29
	v_fma_f32 v18, v18, 2.0, -v38
	v_sub_f32_e32 v33, v63, v33
	v_fma_f32 v19, v19, 2.0, -v22
	v_fma_f32 v37, v37, 2.0, -v30
	v_sub_f32_e32 v27, v62, v27
	v_fma_f32 v24, v24, 2.0, -v20
	v_sub_f32_e32 v61, v43, v61
	v_sub_f32_e32 v34, v60, v34
	v_fma_f32 v16, v16, 2.0, -v31
	v_sub_f32_e32 v35, v41, v35
	v_sub_f32_e32 v25, v42, v25
	v_add_f32_e32 v20, v17, v20
	v_add_f32_e32 v31, v36, v31
	v_fma_f32 v63, v63, 2.0, -v33
	v_sub_f32_e32 v39, v26, v39
	v_fma_f32 v62, v62, 2.0, -v27
	v_sub_f32_e32 v21, v28, v21
	v_fmamk_f32 v67, v19, 0xbf3504f3, v23
	v_fmamk_f32 v68, v37, 0xbf3504f3, v18
	v_fma_f32 v43, v43, 2.0, -v61
	v_fma_f32 v60, v60, 2.0, -v34
	v_fma_f32 v41, v41, 2.0, -v35
	v_fma_f32 v42, v42, 2.0, -v25
	v_fma_f32 v17, v17, 2.0, -v20
	v_fma_f32 v36, v36, 2.0, -v31
	v_fma_f32 v40, v40, 2.0, -v26
	v_fma_f32 v32, v32, 2.0, -v28
	v_fma_f32 v26, v26, 2.0, -v39
	v_fmac_f32_e32 v67, 0x3f3504f3, v37
	v_fma_f32 v28, v28, 2.0, -v21
	v_fmac_f32_e32 v68, 0xbf3504f3, v19
	v_sub_f32_e32 v62, v63, v62
	v_sub_f32_e32 v41, v43, v41
	;; [unrolled: 1-line block ×3, first 2 shown]
	v_fmamk_f32 v72, v36, 0xbf3504f3, v17
	v_fma_f32 v19, v23, 2.0, -v67
	v_fmamk_f32 v69, v22, 0x3f3504f3, v29
	v_fma_f32 v23, v18, 2.0, -v68
	;; [unrolled: 2-line block ×3, first 2 shown]
	v_fmamk_f32 v63, v31, 0x3f3504f3, v20
	v_sub_f32_e32 v16, v32, v16
	v_fma_f32 v37, v43, 2.0, -v41
	v_fma_f32 v43, v60, 2.0, -v42
	v_add_f32_e32 v60, v61, v25
	v_sub_f32_e32 v70, v34, v35
	v_fmac_f32_e32 v72, 0x3f3504f3, v28
	v_fmamk_f32 v71, v30, 0x3f3504f3, v38
	v_fmac_f32_e32 v69, 0x3f3504f3, v30
	v_fmac_f32_e32 v74, 0xbf3504f3, v36
	v_fmamk_f32 v78, v21, 0x3f3504f3, v39
	v_fmac_f32_e32 v63, 0x3f3504f3, v21
	v_sub_f32_e32 v24, v40, v24
	v_fma_f32 v25, v61, 2.0, -v60
	v_fma_f32 v61, v34, 2.0, -v70
	;; [unrolled: 1-line block ×3, first 2 shown]
	v_add_f32_e32 v76, v33, v16
	v_fma_f32 v32, v32, 2.0, -v16
	v_fmac_f32_e32 v71, 0xbf3504f3, v22
	v_fma_f32 v22, v29, 2.0, -v69
	v_fma_f32 v16, v26, 2.0, -v74
	v_fmac_f32_e32 v78, 0xbf3504f3, v31
	v_fma_f32 v20, v20, 2.0, -v63
	v_sub_f32_e32 v77, v24, v27
	v_fma_f32 v21, v33, 2.0, -v76
	v_fmamk_f32 v30, v34, 0xbf6c835e, v19
	v_fma_f32 v40, v40, 2.0, -v24
	v_sub_f32_e32 v28, v37, v18
	v_fma_f32 v26, v39, 2.0, -v78
	v_fmamk_f32 v31, v16, 0xbf6c835e, v23
	v_fmamk_f32 v18, v20, 0xbec3ef15, v22
	v_fma_f32 v24, v24, 2.0, -v77
	v_fmac_f32_e32 v30, 0x3ec3ef15, v16
	v_fmamk_f32 v16, v21, 0xbf3504f3, v25
	v_sub_f32_e32 v73, v40, v32
	v_fma_f32 v75, v38, 2.0, -v71
	v_fmac_f32_e32 v31, 0xbec3ef15, v34
	v_fmac_f32_e32 v18, 0x3f6c835e, v26
	;; [unrolled: 1-line block ×3, first 2 shown]
	v_fma_f32 v29, v40, 2.0, -v73
	v_fmamk_f32 v17, v24, 0xbf3504f3, v61
	v_fma_f32 v34, v19, 2.0, -v30
	v_fmamk_f32 v19, v26, 0xbec3ef15, v75
	v_fma_f32 v35, v23, 2.0, -v31
	v_fma_f32 v38, v22, 2.0, -v18
	v_fmamk_f32 v22, v72, 0x3ec3ef15, v67
	v_fmamk_f32 v23, v74, 0x3ec3ef15, v68
	v_fma_f32 v36, v25, 2.0, -v16
	v_fmamk_f32 v24, v76, 0x3f3504f3, v60
	v_fmamk_f32 v25, v77, 0x3f3504f3, v70
	;; [unrolled: 1-line block ×4, first 2 shown]
	v_sub_f32_e32 v29, v43, v29
	v_fmac_f32_e32 v17, 0xbf3504f3, v21
	v_fmac_f32_e32 v19, 0xbf6c835e, v20
	v_add_f32_e32 v20, v41, v73
	v_sub_f32_e32 v21, v42, v62
	v_fmac_f32_e32 v22, 0x3f6c835e, v74
	v_fmac_f32_e32 v23, 0xbf6c835e, v72
	;; [unrolled: 1-line block ×6, first 2 shown]
	v_fma_f32 v32, v37, 2.0, -v28
	v_fma_f32 v33, v43, 2.0, -v29
	;; [unrolled: 1-line block ×8, first 2 shown]
	v_add_nc_u32_e32 v67, 0x1400, v137
	v_fma_f32 v60, v60, 2.0, -v24
	v_fma_f32 v61, v70, 2.0, -v25
	;; [unrolled: 1-line block ×4, first 2 shown]
	ds_write2_b64 v145, v[32:33], v[34:35] offset1:10
	ds_write2_b64 v145, v[36:37], v[38:39] offset0:20 offset1:30
	ds_write2_b64 v145, v[40:41], v[42:43] offset0:40 offset1:50
	;; [unrolled: 1-line block ×7, first 2 shown]
	s_waitcnt lgkmcnt(0)
	s_barrier
	buffer_gl0_inv
	ds_read2_b64 v[28:31], v137 offset1:160
	ds_read2_b64 v[60:63], v64 offset0:64 offset1:224
	ds_read2_b64 v[40:43], v67 offset1:160
	ds_read2_b64 v[36:39], v65 offset0:64 offset1:224
	ds_read2_b64 v[32:35], v66 offset1:160
	s_and_saveexec_b32 s0, vcc_lo
	s_cbranch_execz .LBB0_19
; %bb.18:
	v_add_nc_u32_e32 v16, 0x200, v137
	v_add_nc_u32_e32 v20, 0xc00, v137
	;; [unrolled: 1-line block ×5, first 2 shown]
	ds_read2_b64 v[16:19], v16 offset0:36 offset1:196
	ds_read2_b64 v[20:23], v20 offset0:36 offset1:196
	;; [unrolled: 1-line block ×5, first 2 shown]
.LBB0_19:
	s_or_b32 exec_lo, exec_lo, s0
	s_waitcnt lgkmcnt(4)
	v_mul_f32_e32 v68, v57, v31
	v_mul_f32_e32 v57, v57, v30
	s_waitcnt lgkmcnt(3)
	v_mul_f32_e32 v69, v59, v61
	v_mul_f32_e32 v59, v59, v60
	v_fmac_f32_e32 v68, v56, v30
	v_fma_f32 v31, v56, v31, -v57
	v_mul_f32_e32 v30, v53, v63
	v_mul_f32_e32 v53, v53, v62
	s_waitcnt lgkmcnt(2)
	v_mul_f32_e32 v57, v55, v41
	v_mul_f32_e32 v55, v55, v40
	v_fmac_f32_e32 v69, v58, v60
	v_fmac_f32_e32 v30, v52, v62
	v_fma_f32 v52, v52, v63, -v53
	v_mul_f32_e32 v53, v49, v43
	v_fmac_f32_e32 v57, v54, v40
	v_fma_f32 v40, v54, v41, -v55
	v_mul_f32_e32 v41, v49, v42
	s_waitcnt lgkmcnt(1)
	v_mul_f32_e32 v49, v51, v37
	v_fmac_f32_e32 v53, v48, v42
	v_mul_f32_e32 v42, v51, v36
	v_mul_f32_e32 v51, v45, v39
	v_fma_f32 v41, v48, v43, -v41
	v_fmac_f32_e32 v49, v50, v36
	s_waitcnt lgkmcnt(0)
	v_mul_f32_e32 v36, v47, v32
	v_mul_f32_e32 v43, v136, v35
	v_fmac_f32_e32 v51, v44, v38
	v_mul_f32_e32 v38, v45, v38
	v_add_f32_e32 v45, v28, v69
	v_fma_f32 v36, v46, v33, -v36
	v_mul_f32_e32 v33, v47, v33
	v_fma_f32 v56, v58, v61, -v59
	v_fma_f32 v37, v50, v37, -v42
	v_add_f32_e32 v42, v57, v49
	v_fmac_f32_e32 v43, v135, v34
	v_fmac_f32_e32 v33, v46, v32
	v_add_f32_e32 v32, v45, v57
	v_sub_f32_e32 v45, v69, v57
	v_mul_f32_e32 v34, v136, v34
	v_fma_f32 v47, -0.5, v42, v28
	v_sub_f32_e32 v46, v33, v49
	v_add_f32_e32 v48, v69, v33
	v_add_f32_e32 v32, v32, v49
	v_sub_f32_e32 v42, v56, v36
	v_fma_f32 v38, v44, v39, -v38
	v_sub_f32_e32 v44, v40, v37
	v_add_f32_e32 v45, v45, v46
	v_fma_f32 v46, -0.5, v48, v28
	v_fma_f32 v28, v135, v35, -v34
	v_add_f32_e32 v48, v32, v33
	v_sub_f32_e32 v32, v57, v69
	v_sub_f32_e32 v34, v49, v33
	v_add_f32_e32 v35, v29, v56
	v_fmamk_f32 v39, v42, 0xbf737871, v47
	v_fmac_f32_e32 v47, 0x3f737871, v42
	v_fmamk_f32 v50, v44, 0x3f737871, v46
	v_add_f32_e32 v54, v40, v37
	v_add_f32_e32 v32, v32, v34
	v_fmac_f32_e32 v46, 0xbf737871, v44
	v_add_f32_e32 v34, v35, v40
	v_fmac_f32_e32 v39, 0xbf167918, v44
	v_fmac_f32_e32 v47, 0x3f167918, v44
	;; [unrolled: 1-line block ×3, first 2 shown]
	v_fma_f32 v54, -0.5, v54, v29
	v_sub_f32_e32 v33, v69, v33
	v_fmac_f32_e32 v46, 0x3f167918, v42
	v_add_f32_e32 v34, v34, v37
	v_add_f32_e32 v35, v56, v36
	v_fmac_f32_e32 v39, 0x3e9e377a, v45
	v_fmac_f32_e32 v47, 0x3e9e377a, v45
	;; [unrolled: 1-line block ×3, first 2 shown]
	v_fmamk_f32 v45, v33, 0x3f737871, v54
	v_sub_f32_e32 v42, v57, v49
	v_sub_f32_e32 v44, v56, v40
	;; [unrolled: 1-line block ×3, first 2 shown]
	v_fmac_f32_e32 v46, 0x3e9e377a, v32
	v_fma_f32 v55, -0.5, v35, v29
	v_add_f32_e32 v57, v34, v36
	v_fmac_f32_e32 v54, 0xbf737871, v33
	v_sub_f32_e32 v32, v40, v56
	v_sub_f32_e32 v34, v37, v36
	v_add_f32_e32 v35, v68, v30
	v_fmac_f32_e32 v45, 0x3f167918, v42
	v_add_f32_e32 v29, v44, v49
	v_fmamk_f32 v49, v42, 0xbf737871, v55
	v_fmac_f32_e32 v54, 0xbf167918, v42
	v_add_f32_e32 v32, v32, v34
	v_fmac_f32_e32 v55, 0x3f737871, v42
	v_add_f32_e32 v34, v35, v53
	v_add_f32_e32 v35, v53, v51
	v_fmac_f32_e32 v45, 0x3e9e377a, v29
	v_fmac_f32_e32 v49, 0x3f167918, v33
	;; [unrolled: 1-line block ×4, first 2 shown]
	v_add_f32_e32 v29, v34, v51
	v_fma_f32 v33, -0.5, v35, v68
	v_add_f32_e32 v34, v30, v43
	v_sub_f32_e32 v35, v52, v28
	v_fmac_f32_e32 v49, 0x3e9e377a, v32
	v_fmac_f32_e32 v55, 0x3e9e377a, v32
	v_add_f32_e32 v40, v29, v43
	v_sub_f32_e32 v29, v41, v38
	v_fmac_f32_e32 v68, -0.5, v34
	v_fmamk_f32 v37, v35, 0xbf737871, v33
	v_sub_f32_e32 v32, v30, v53
	v_sub_f32_e32 v34, v43, v51
	v_fmac_f32_e32 v33, 0x3f737871, v35
	v_fmamk_f32 v42, v29, 0x3f737871, v68
	v_fmac_f32_e32 v37, 0xbf167918, v29
	v_sub_f32_e32 v36, v53, v30
	v_add_f32_e32 v32, v32, v34
	v_fmac_f32_e32 v33, 0x3f167918, v29
	v_sub_f32_e32 v44, v51, v43
	v_fmac_f32_e32 v68, 0xbf737871, v29
	v_add_f32_e32 v29, v41, v38
	v_fmac_f32_e32 v37, 0x3e9e377a, v32
	v_fmac_f32_e32 v33, 0x3e9e377a, v32
	v_add_f32_e32 v32, v52, v28
	v_fmac_f32_e32 v42, 0xbf167918, v35
	v_add_f32_e32 v34, v36, v44
	v_fmac_f32_e32 v68, 0x3f167918, v35
	v_fma_f32 v29, -0.5, v29, v31
	v_sub_f32_e32 v30, v30, v43
	v_add_f32_e32 v35, v31, v52
	v_sub_f32_e32 v36, v53, v51
	v_fmac_f32_e32 v31, -0.5, v32
	v_fmac_f32_e32 v42, 0x3e9e377a, v34
	v_fmac_f32_e32 v68, 0x3e9e377a, v34
	v_fmamk_f32 v43, v30, 0x3f737871, v29
	v_sub_f32_e32 v32, v52, v41
	v_sub_f32_e32 v34, v28, v38
	v_fmamk_f32 v44, v36, 0xbf737871, v31
	v_sub_f32_e32 v51, v41, v52
	v_sub_f32_e32 v52, v38, v28
	v_fmac_f32_e32 v31, 0x3f737871, v36
	v_fmac_f32_e32 v29, 0xbf737871, v30
	;; [unrolled: 1-line block ×3, first 2 shown]
	v_add_f32_e32 v32, v32, v34
	v_fmac_f32_e32 v44, 0x3f167918, v30
	v_add_f32_e32 v34, v51, v52
	v_fmac_f32_e32 v31, 0xbf167918, v30
	v_fmac_f32_e32 v29, 0xbf167918, v36
	v_add_f32_e32 v30, v35, v41
	v_fmac_f32_e32 v43, 0x3e9e377a, v32
	v_fmac_f32_e32 v44, 0x3e9e377a, v34
	;; [unrolled: 1-line block ×4, first 2 shown]
	v_add_f32_e32 v30, v30, v38
	v_mul_f32_e32 v41, 0xbf167918, v43
	v_mul_f32_e32 v43, 0x3f4f1bbd, v43
	;; [unrolled: 1-line block ×8, first 2 shown]
	v_add_f32_e32 v53, v30, v28
	v_fmac_f32_e32 v41, 0x3f4f1bbd, v37
	v_fmac_f32_e32 v43, 0x3f167918, v37
	;; [unrolled: 1-line block ×8, first 2 shown]
	v_add_f32_e32 v28, v48, v40
	v_add_f32_e32 v30, v39, v41
	;; [unrolled: 1-line block ×10, first 2 shown]
	v_sub_f32_e32 v38, v48, v40
	v_sub_f32_e32 v40, v39, v41
	;; [unrolled: 1-line block ×10, first 2 shown]
	ds_write2_b64 v137, v[28:29], v[30:31] offset1:160
	ds_write2_b64 v64, v[32:33], v[34:35] offset0:64 offset1:224
	ds_write2_b64 v67, v[36:37], v[38:39] offset1:160
	ds_write2_b64 v65, v[40:41], v[42:43] offset0:64 offset1:224
	ds_write2_b64 v66, v[44:45], v[46:47] offset1:160
	s_and_saveexec_b32 s0, vcc_lo
	s_cbranch_execz .LBB0_21
; %bb.20:
	v_mul_f32_e32 v28, v3, v24
	v_mul_f32_e32 v29, v15, v84
	;; [unrolled: 1-line block ×5, first 2 shown]
	v_fma_f32 v28, v2, v25, -v28
	v_fma_f32 v29, v14, v85, -v29
	v_mul_f32_e32 v32, v7, v21
	v_fmac_f32_e32 v15, v14, v84
	v_mul_f32_e32 v14, v9, v87
	v_mul_f32_e32 v9, v9, v86
	v_add_f32_e32 v7, v29, v28
	v_fma_f32 v21, v6, v21, -v30
	v_fma_f32 v30, v10, v81, -v31
	v_fmac_f32_e32 v32, v6, v20
	v_mul_f32_e32 v25, v3, v25
	v_fma_f32 v20, -0.5, v7, v17
	v_mul_f32_e32 v31, v1, v23
	v_mul_f32_e32 v7, v13, v26
	v_fmac_f32_e32 v14, v8, v86
	v_fma_f32 v8, v8, v87, -v9
	v_mul_f32_e32 v1, v1, v22
	v_mul_f32_e32 v9, v132, v82
	;; [unrolled: 1-line block ×3, first 2 shown]
	v_fmac_f32_e32 v25, v2, v24
	v_mul_f32_e32 v2, v132, v83
	v_fmac_f32_e32 v31, v0, v22
	v_mul_f32_e32 v13, v5, v19
	v_fma_f32 v7, v12, v27, -v7
	v_mul_f32_e32 v5, v5, v18
	v_fma_f32 v0, v0, v23, -v1
	v_fma_f32 v9, v131, v83, -v9
	v_fmac_f32_e32 v33, v12, v26
	v_fmac_f32_e32 v2, v131, v82
	;; [unrolled: 1-line block ×3, first 2 shown]
	v_fma_f32 v4, v4, v19, -v5
	v_add_f32_e32 v5, v7, v8
	v_add_f32_e32 v39, v9, v0
	v_mul_f32_e32 v11, v11, v81
	v_sub_f32_e32 v19, v0, v9
	v_sub_f32_e32 v22, v0, v7
	v_fma_f32 v18, -0.5, v5, v4
	v_sub_f32_e32 v5, v31, v2
	v_sub_f32_e32 v26, v33, v14
	v_add_f32_e32 v37, v30, v21
	v_fma_f32 v39, -0.5, v39, v4
	v_sub_f32_e32 v44, v7, v0
	v_add_f32_e32 v0, v0, v4
	v_fmac_f32_e32 v11, v10, v80
	v_sub_f32_e32 v23, v9, v8
	v_fmamk_f32 v24, v5, 0xbf737871, v18
	v_sub_f32_e32 v36, v25, v15
	v_fma_f32 v37, -0.5, v37, v17
	v_fmamk_f32 v46, v26, 0x3f737871, v39
	v_fmac_f32_e32 v39, 0xbf737871, v26
	v_fmac_f32_e32 v18, 0x3f737871, v5
	v_add_f32_e32 v0, v7, v0
	v_sub_f32_e32 v3, v32, v11
	v_add_f32_e32 v22, v23, v22
	v_fmac_f32_e32 v24, 0xbf167918, v26
	v_add_f32_e32 v40, v2, v31
	v_fmamk_f32 v48, v36, 0x3f737871, v37
	v_fmac_f32_e32 v46, 0xbf167918, v5
	v_fmac_f32_e32 v37, 0xbf737871, v36
	;; [unrolled: 1-line block ×4, first 2 shown]
	v_add_f32_e32 v5, v21, v17
	v_add_f32_e32 v0, v8, v0
	v_sub_f32_e32 v6, v21, v28
	v_sub_f32_e32 v10, v30, v29
	v_add_f32_e32 v12, v33, v14
	v_sub_f32_e32 v35, v7, v8
	v_fmamk_f32 v23, v3, 0xbf737871, v20
	v_fmac_f32_e32 v24, 0x3e9e377a, v22
	v_fma_f32 v40, -0.5, v40, v13
	v_fmac_f32_e32 v48, 0xbf167918, v3
	v_fmac_f32_e32 v37, 0x3f167918, v3
	;; [unrolled: 1-line block ×4, first 2 shown]
	v_add_f32_e32 v3, v28, v5
	v_add_f32_e32 v22, v9, v0
	;; [unrolled: 1-line block ×4, first 2 shown]
	v_fma_f32 v12, -0.5, v12, v13
	v_add_f32_e32 v6, v10, v6
	v_fmac_f32_e32 v23, 0xbf167918, v36
	v_sub_f32_e32 v38, v28, v21
	v_sub_f32_e32 v45, v8, v9
	v_fmamk_f32 v47, v35, 0xbf737871, v40
	v_fmac_f32_e32 v40, 0x3f737871, v35
	v_fmac_f32_e32 v20, 0x3f167918, v36
	v_add_f32_e32 v3, v29, v3
	v_fma_f32 v26, -0.5, v0, v16
	v_sub_f32_e32 v0, v21, v30
	v_sub_f32_e32 v8, v28, v29
	v_fma_f32 v21, -0.5, v4, v16
	v_sub_f32_e32 v1, v31, v33
	v_sub_f32_e32 v27, v2, v14
	v_fmamk_f32 v34, v19, 0x3f737871, v12
	v_fmac_f32_e32 v23, 0x3e9e377a, v6
	v_sub_f32_e32 v41, v29, v30
	v_sub_f32_e32 v42, v33, v31
	;; [unrolled: 1-line block ×3, first 2 shown]
	v_fmac_f32_e32 v47, 0x3f167918, v19
	v_fmac_f32_e32 v40, 0xbf167918, v19
	;; [unrolled: 1-line block ×4, first 2 shown]
	v_add_f32_e32 v19, v30, v3
	v_sub_f32_e32 v6, v32, v25
	v_sub_f32_e32 v4, v11, v15
	;; [unrolled: 1-line block ×4, first 2 shown]
	v_fmamk_f32 v30, v8, 0xbf737871, v21
	v_fmac_f32_e32 v21, 0x3f737871, v8
	v_add_f32_e32 v27, v27, v1
	v_fmac_f32_e32 v34, 0x3f167918, v35
	v_add_f32_e32 v42, v43, v42
	v_add_f32_e32 v43, v45, v44
	v_fmac_f32_e32 v12, 0xbf167918, v35
	v_add_f32_e32 v4, v4, v6
	v_add_f32_e32 v6, v29, v28
	v_fmac_f32_e32 v30, 0x3f167918, v0
	v_fmac_f32_e32 v21, 0xbf167918, v0
	v_add_f32_e32 v16, v32, v16
	v_add_f32_e32 v13, v31, v13
	v_fmac_f32_e32 v34, 0x3e9e377a, v27
	v_fmac_f32_e32 v39, 0x3e9e377a, v43
	;; [unrolled: 1-line block ×3, first 2 shown]
	v_fmamk_f32 v27, v0, 0x3f737871, v26
	v_fmac_f32_e32 v30, 0x3e9e377a, v6
	v_fmac_f32_e32 v26, 0xbf737871, v0
	;; [unrolled: 1-line block ×3, first 2 shown]
	v_add_f32_e32 v0, v25, v16
	v_add_f32_e32 v6, v33, v13
	;; [unrolled: 1-line block ×3, first 2 shown]
	v_fmac_f32_e32 v46, 0x3e9e377a, v43
	v_fmac_f32_e32 v40, 0x3e9e377a, v42
	v_mul_f32_e32 v17, 0x3f4f1bbd, v18
	v_mul_f32_e32 v16, 0xbf737871, v39
	v_fmac_f32_e32 v26, 0xbf167918, v8
	v_mul_f32_e32 v18, 0xbf167918, v18
	v_add_f32_e32 v0, v15, v0
	v_add_f32_e32 v6, v14, v6
	v_fmac_f32_e32 v47, 0x3e9e377a, v42
	v_mul_f32_e32 v41, 0xbe9e377a, v46
	v_fmac_f32_e32 v48, 0x3e9e377a, v38
	v_fmac_f32_e32 v37, 0x3e9e377a, v38
	v_mul_f32_e32 v38, 0x3e9e377a, v39
	v_mul_f32_e32 v28, 0xbf737871, v46
	;; [unrolled: 1-line block ×3, first 2 shown]
	v_fmac_f32_e32 v27, 0x3f167918, v8
	v_mul_f32_e32 v24, 0xbf167918, v24
	v_fmac_f32_e32 v17, 0x3f167918, v12
	v_fmac_f32_e32 v16, 0x3e9e377a, v40
	;; [unrolled: 1-line block ×4, first 2 shown]
	v_add_f32_e32 v25, v11, v0
	v_add_f32_e32 v29, v2, v6
	v_fmac_f32_e32 v41, 0x3f737871, v47
	v_fmac_f32_e32 v38, 0x3f737871, v40
	;; [unrolled: 1-line block ×6, first 2 shown]
	v_sub_f32_e32 v7, v20, v17
	v_sub_f32_e32 v9, v19, v22
	v_sub_f32_e32 v4, v21, v16
	v_sub_f32_e32 v6, v26, v18
	v_add_f32_e32 v17, v20, v17
	v_add_f32_e32 v19, v19, v22
	v_add_f32_e32 v14, v21, v16
	v_add_f32_e32 v16, v26, v18
	v_add_f32_e32 v18, v25, v29
	v_add_nc_u32_e32 v20, 0x200, v137
	v_add_f32_e32 v13, v48, v41
	v_add_f32_e32 v15, v37, v38
	;; [unrolled: 1-line block ×3, first 2 shown]
	v_add_nc_u32_e32 v21, 0xc00, v137
	v_sub_f32_e32 v1, v23, v10
	v_sub_f32_e32 v8, v25, v29
	v_add_f32_e32 v11, v23, v10
	v_add_f32_e32 v10, v27, v24
	v_add_nc_u32_e32 v22, 0x1600, v137
	v_sub_f32_e32 v5, v37, v38
	v_add_nc_u32_e32 v23, 0x2000, v137
	v_sub_f32_e32 v3, v48, v41
	v_sub_f32_e32 v0, v27, v24
	;; [unrolled: 1-line block ×3, first 2 shown]
	v_add_nc_u32_e32 v24, 0x2a00, v137
	ds_write2_b64 v20, v[18:19], v[16:17] offset0:36 offset1:196
	ds_write2_b64 v21, v[14:15], v[12:13] offset0:36 offset1:196
	ds_write2_b64 v22, v[10:11], v[8:9] offset0:36 offset1:196
	ds_write2_b64 v23, v[6:7], v[4:5] offset0:36 offset1:196
	ds_write2_b64 v24, v[2:3], v[0:1] offset0:36 offset1:196
.LBB0_21:
	s_or_b32 exec_lo, exec_lo, s0
	s_waitcnt lgkmcnt(0)
	s_barrier
	buffer_gl0_inv
	ds_read2_b64 v[0:3], v137 offset1:160
	v_add_nc_u32_e32 v4, 0x800, v137
	s_mov_b32 s4, 0x47ae147b
	s_mov_b32 s5, 0x3f447ae1
	v_mad_u64_u32 v[12:13], null, s10, v110, 0
	ds_read2_b64 v[4:7], v4 offset0:64 offset1:224
	v_mad_u64_u32 v[14:15], null, s8, v139, 0
	v_add_nc_u32_e32 v9, 0x1400, v137
	v_add_nc_u32_e32 v34, 0x1c00, v137
	;; [unrolled: 1-line block ×3, first 2 shown]
	s_mul_i32 s1, s9, 0xa0
	s_mul_hi_u32 s6, s8, 0xa0
	s_mul_i32 s0, s8, 0xa0
	v_mad_u64_u32 v[18:19], null, s11, v110, v[13:14]
	s_add_i32 s1, s6, s1
	s_lshl_b64 s[6:7], s[0:1], 3
	s_waitcnt lgkmcnt(1)
	v_mul_f32_e32 v16, v128, v1
	v_mul_f32_e32 v8, v128, v0
	;; [unrolled: 1-line block ×4, first 2 shown]
	s_mul_i32 s1, s9, 0xa00
	v_fmac_f32_e32 v16, v127, v0
	v_fma_f32 v17, v127, v1, -v8
	v_fmac_f32_e32 v20, v119, v2
	v_fma_f32 v2, v119, v3, -v21
	s_waitcnt lgkmcnt(0)
	v_mul_f32_e32 v3, v130, v5
	v_cvt_f64_f32_e32 v[0:1], v16
	v_cvt_f64_f32_e32 v[16:17], v17
	v_mul_f32_e32 v13, v130, v4
	v_mul_f32_e32 v31, v126, v7
	;; [unrolled: 1-line block ×3, first 2 shown]
	v_fmac_f32_e32 v3, v129, v4
	v_cvt_f64_f32_e32 v[21:22], v2
	v_fma_f32 v4, v129, v5, -v13
	v_fmac_f32_e32 v31, v125, v6
	v_fma_f32 v2, v125, v7, -v23
	v_cvt_f64_f32_e32 v[19:20], v20
	v_cvt_f64_f32_e32 v[23:24], v3
	ds_read2_b64 v[8:11], v9 offset1:160
	v_cvt_f64_f32_e32 v[25:26], v4
	v_cvt_f64_f32_e32 v[32:33], v2
	v_mov_b32_e32 v13, v18
	v_lshlrev_b64 v[12:13], 3, v[12:13]
	v_mul_f64 v[27:28], v[0:1], s[4:5]
	v_mul_f64 v[16:17], v[16:17], s[4:5]
	ds_read2_b64 v[0:3], v34 offset0:64 offset1:224
	ds_read2_b64 v[4:7], v35 offset1:160
	v_add_co_u32 v40, s0, s2, v12
	v_add_co_ci_u32_e64 v41, s0, s3, v13, s0
	s_waitcnt lgkmcnt(2)
	v_mul_f32_e32 v34, v116, v8
	v_mul_f64 v[18:19], v[19:20], s[4:5]
	v_mul_f64 v[20:21], v[21:22], s[4:5]
	;; [unrolled: 1-line block ×4, first 2 shown]
	v_mul_f32_e32 v35, v114, v11
	v_mul_f32_e32 v36, v114, v10
	v_fmac_f32_e32 v35, v113, v10
	v_cvt_f32_f64_e32 v26, v[27:28]
	v_mad_u64_u32 v[29:30], null, s9, v139, v[15:16]
	v_cvt_f64_f32_e32 v[30:31], v31
	v_cvt_f32_f64_e32 v27, v[16:17]
	v_fma_f32 v28, v115, v9, -v34
	v_mul_f64 v[16:17], v[32:33], s[4:5]
	s_waitcnt lgkmcnt(1)
	v_mul_f32_e32 v32, v124, v3
	s_waitcnt lgkmcnt(0)
	v_mul_f32_e32 v33, v112, v5
	v_mov_b32_e32 v15, v29
	v_mul_f32_e32 v29, v116, v9
	v_cvt_f32_f64_e32 v18, v[18:19]
	v_cvt_f32_f64_e32 v19, v[20:21]
	;; [unrolled: 1-line block ×3, first 2 shown]
	v_lshlrev_b64 v[14:15], 3, v[14:15]
	v_fmac_f32_e32 v29, v115, v8
	v_fma_f32 v22, v113, v11, -v36
	v_fmac_f32_e32 v32, v123, v2
	v_mul_f32_e32 v2, v124, v2
	v_fmac_f32_e32 v33, v111, v4
	v_add_co_u32 v14, s0, v40, v14
	v_add_co_ci_u32_e64 v15, s0, v41, v15, s0
	v_cvt_f64_f32_e32 v[12:13], v29
	v_mul_f64 v[8:9], v[30:31], s[4:5]
	v_cvt_f64_f32_e32 v[28:29], v28
	v_cvt_f64_f32_e32 v[22:23], v22
	global_store_dwordx2 v[14:15], v[26:27], off
	v_mul_f32_e32 v26, v122, v1
	v_mul_f32_e32 v27, v122, v0
	;; [unrolled: 1-line block ×4, first 2 shown]
	v_fma_f32 v2, v123, v3, -v2
	v_fmac_f32_e32 v26, v121, v0
	v_fma_f32 v27, v121, v1, -v27
	v_fma_f32 v36, v111, v5, -v4
	v_fmac_f32_e32 v34, v117, v6
	v_cvt_f32_f64_e32 v21, v[24:25]
	v_cvt_f64_f32_e32 v[0:1], v26
	v_cvt_f64_f32_e32 v[26:27], v27
	v_cvt_f64_f32_e32 v[2:3], v2
	v_add_co_u32 v30, s0, v14, s6
	v_add_co_ci_u32_e64 v31, s0, s7, v15, s0
	v_mul_f64 v[12:13], v[12:13], s[4:5]
	v_cvt_f32_f64_e32 v8, v[8:9]
	v_cvt_f32_f64_e32 v9, v[16:17]
	v_cvt_f64_f32_e32 v[16:17], v35
	v_mul_f32_e32 v35, v118, v6
	v_mul_f64 v[24:25], v[28:29], s[4:5]
	v_cvt_f64_f32_e32 v[28:29], v32
	v_cvt_f64_f32_e32 v[32:33], v33
	v_add_co_u32 v14, s0, v30, s6
	v_fma_f32 v35, v117, v7, -v35
	v_mul_f64 v[6:7], v[22:23], s[4:5]
	v_cvt_f64_f32_e32 v[22:23], v34
	v_add_co_ci_u32_e64 v15, s0, s7, v31, s0
	v_cvt_f64_f32_e32 v[34:35], v35
	v_mad_u64_u32 v[10:11], null, s8, v138, 0
	v_mul_f64 v[0:1], v[0:1], s[4:5]
	global_store_dwordx2 v[30:31], v[18:19], off
	v_mul_f64 v[18:19], v[26:27], s[4:5]
	v_mul_f64 v[2:3], v[2:3], s[4:5]
	v_mad_u64_u32 v[38:39], null, s9, v138, v[11:12]
	v_mul_f64 v[4:5], v[16:17], s[4:5]
	v_cvt_f64_f32_e32 v[16:17], v36
	v_add_co_u32 v36, s0, v14, s6
	v_add_co_ci_u32_e64 v37, s0, s7, v15, s0
	global_store_dwordx2 v[14:15], v[20:21], off
	global_store_dwordx2 v[36:37], v[8:9], off
	v_cvt_f32_f64_e32 v8, v[12:13]
	v_mul_f64 v[12:13], v[28:29], s[4:5]
	v_mul_f64 v[14:15], v[32:33], s[4:5]
	v_cvt_f32_f64_e32 v9, v[24:25]
	v_mul_f64 v[22:23], v[22:23], s[4:5]
	v_mul_f64 v[24:25], v[34:35], s[4:5]
	v_mad_u64_u32 v[20:21], null, 0xa00, s8, v[36:37]
	v_cvt_f32_f64_e32 v26, v[0:1]
	v_cvt_f32_f64_e32 v27, v[18:19]
	v_mov_b32_e32 v11, v38
	v_cvt_f32_f64_e32 v4, v[4:5]
	v_mul_f64 v[16:17], v[16:17], s[4:5]
	v_cvt_f32_f64_e32 v5, v[6:7]
	v_mad_u64_u32 v[6:7], null, s8, v140, 0
	v_add_nc_u32_e32 v21, s1, v21
	v_add_co_u32 v18, s0, v20, s6
	v_lshlrev_b64 v[10:11], 3, v[10:11]
	v_add_co_ci_u32_e64 v19, s0, s7, v21, s0
	v_mov_b32_e32 v0, v7
	v_cvt_f32_f64_e32 v12, v[12:13]
	v_cvt_f32_f64_e32 v13, v[2:3]
	;; [unrolled: 1-line block ×4, first 2 shown]
	v_mad_u64_u32 v[0:1], null, s9, v140, v[0:1]
	v_cvt_f32_f64_e32 v15, v[24:25]
	v_cvt_f32_f64_e32 v3, v[16:17]
	v_add_co_u32 v16, s0, v18, s6
	v_add_co_ci_u32_e64 v17, s0, s7, v19, s0
	v_mov_b32_e32 v7, v0
	v_add_co_u32 v10, s0, v40, v10
	v_mad_u64_u32 v[0:1], null, 0xa00, s8, v[16:17]
	v_lshlrev_b64 v[6:7], 3, v[6:7]
	v_add_co_ci_u32_e64 v11, s0, v41, v11, s0
	global_store_dwordx2 v[10:11], v[8:9], off
	global_store_dwordx2 v[20:21], v[4:5], off
	v_add_co_u32 v4, s0, v40, v6
	v_add_nc_u32_e32 v1, s1, v1
	v_add_co_ci_u32_e64 v5, s0, v41, v7, s0
	global_store_dwordx2 v[18:19], v[26:27], off
	global_store_dwordx2 v[16:17], v[12:13], off
	;; [unrolled: 1-line block ×4, first 2 shown]
	s_and_b32 exec_lo, exec_lo, vcc_lo
	s_cbranch_execz .LBB0_23
; %bb.22:
	global_load_dwordx2 v[6:7], v[100:101], off offset:800
	v_add_nc_u32_e32 v2, 0x200, v137
	v_mad_u64_u32 v[0:1], null, 0xffffd620, s8, v[0:1]
	s_mul_i32 s0, s9, 0xffffd620
	ds_read2_b64 v[2:5], v2 offset0:36 offset1:196
	s_sub_i32 s0, s0, s8
	v_add_nc_u32_e32 v1, s0, v1
	s_waitcnt vmcnt(0) lgkmcnt(0)
	v_mul_f32_e32 v8, v3, v7
	v_mul_f32_e32 v7, v2, v7
	v_fmac_f32_e32 v8, v2, v6
	v_fma_f32 v6, v6, v3, -v7
	v_cvt_f64_f32_e32 v[2:3], v8
	v_cvt_f64_f32_e32 v[6:7], v6
	v_mul_f64 v[2:3], v[2:3], s[4:5]
	v_mul_f64 v[6:7], v[6:7], s[4:5]
	v_cvt_f32_f64_e32 v2, v[2:3]
	v_cvt_f32_f64_e32 v3, v[6:7]
	global_store_dwordx2 v[0:1], v[2:3], off
	global_load_dwordx2 v[2:3], v[108:109], off offset:32
	s_waitcnt vmcnt(0)
	v_mul_f32_e32 v6, v5, v3
	v_mul_f32_e32 v3, v4, v3
	v_fmac_f32_e32 v6, v4, v2
	v_fma_f32 v4, v2, v5, -v3
	v_cvt_f64_f32_e32 v[2:3], v6
	v_cvt_f64_f32_e32 v[4:5], v4
	v_mul_f64 v[2:3], v[2:3], s[4:5]
	v_mul_f64 v[4:5], v[4:5], s[4:5]
	v_cvt_f32_f64_e32 v2, v[2:3]
	v_cvt_f32_f64_e32 v3, v[4:5]
	v_add_co_u32 v4, vcc_lo, v0, s6
	v_add_co_ci_u32_e32 v5, vcc_lo, s7, v1, vcc_lo
	v_add_nc_u32_e32 v0, 0xc00, v137
	global_store_dwordx2 v[4:5], v[2:3], off
	global_load_dwordx2 v[6:7], v[108:109], off offset:1312
	ds_read2_b64 v[0:3], v0 offset0:36 offset1:196
	v_add_co_u32 v4, vcc_lo, v4, s6
	v_add_co_ci_u32_e32 v5, vcc_lo, s7, v5, vcc_lo
	s_waitcnt vmcnt(0) lgkmcnt(0)
	v_mul_f32_e32 v8, v1, v7
	v_mul_f32_e32 v7, v0, v7
	v_fmac_f32_e32 v8, v0, v6
	v_fma_f32 v6, v6, v1, -v7
	v_cvt_f64_f32_e32 v[0:1], v8
	v_cvt_f64_f32_e32 v[6:7], v6
	v_mul_f64 v[0:1], v[0:1], s[4:5]
	v_mul_f64 v[6:7], v[6:7], s[4:5]
	v_cvt_f32_f64_e32 v0, v[0:1]
	v_cvt_f32_f64_e32 v1, v[6:7]
	v_add_co_u32 v6, vcc_lo, 0x1000, v100
	v_add_co_ci_u32_e32 v7, vcc_lo, 0, v101, vcc_lo
	global_store_dwordx2 v[4:5], v[0:1], off
	global_load_dwordx2 v[0:1], v[6:7], off offset:544
	v_add_co_u32 v4, vcc_lo, v4, s6
	v_add_co_ci_u32_e32 v5, vcc_lo, s7, v5, vcc_lo
	s_waitcnt vmcnt(0)
	v_mul_f32_e32 v8, v3, v1
	v_mul_f32_e32 v1, v2, v1
	v_fmac_f32_e32 v8, v2, v0
	v_fma_f32 v2, v0, v3, -v1
	v_cvt_f64_f32_e32 v[0:1], v8
	v_cvt_f64_f32_e32 v[2:3], v2
	v_mul_f64 v[0:1], v[0:1], s[4:5]
	v_mul_f64 v[2:3], v[2:3], s[4:5]
	v_cvt_f32_f64_e32 v0, v[0:1]
	v_cvt_f32_f64_e32 v1, v[2:3]
	global_store_dwordx2 v[4:5], v[0:1], off
	global_load_dwordx2 v[6:7], v[6:7], off offset:1824
	v_add_nc_u32_e32 v0, 0x1600, v137
	v_add_co_u32 v4, vcc_lo, v4, s6
	v_add_co_ci_u32_e32 v5, vcc_lo, s7, v5, vcc_lo
	ds_read2_b64 v[0:3], v0 offset0:36 offset1:196
	s_waitcnt vmcnt(0) lgkmcnt(0)
	v_mul_f32_e32 v8, v1, v7
	v_mul_f32_e32 v7, v0, v7
	v_fmac_f32_e32 v8, v0, v6
	v_fma_f32 v6, v6, v1, -v7
	v_cvt_f64_f32_e32 v[0:1], v8
	v_cvt_f64_f32_e32 v[6:7], v6
	v_mul_f64 v[0:1], v[0:1], s[4:5]
	v_mul_f64 v[6:7], v[6:7], s[4:5]
	v_cvt_f32_f64_e32 v0, v[0:1]
	v_cvt_f32_f64_e32 v1, v[6:7]
	global_store_dwordx2 v[4:5], v[0:1], off
	global_load_dwordx2 v[0:1], v[104:105], off offset:1056
	v_add_co_u32 v4, vcc_lo, v4, s6
	v_add_co_ci_u32_e32 v5, vcc_lo, s7, v5, vcc_lo
	s_waitcnt vmcnt(0)
	v_mul_f32_e32 v6, v3, v1
	v_mul_f32_e32 v1, v2, v1
	v_fmac_f32_e32 v6, v2, v0
	v_fma_f32 v2, v0, v3, -v1
	v_cvt_f64_f32_e32 v[0:1], v6
	v_cvt_f64_f32_e32 v[2:3], v2
	v_mul_f64 v[0:1], v[0:1], s[4:5]
	v_mul_f64 v[2:3], v[2:3], s[4:5]
	v_cvt_f32_f64_e32 v0, v[0:1]
	v_cvt_f32_f64_e32 v1, v[2:3]
	global_store_dwordx2 v[4:5], v[0:1], off
	global_load_dwordx2 v[6:7], v[106:107], off offset:288
	v_add_nc_u32_e32 v0, 0x2000, v137
	v_add_co_u32 v4, vcc_lo, v4, s6
	v_add_co_ci_u32_e32 v5, vcc_lo, s7, v5, vcc_lo
	ds_read2_b64 v[0:3], v0 offset0:36 offset1:196
	s_waitcnt vmcnt(0) lgkmcnt(0)
	v_mul_f32_e32 v8, v1, v7
	v_mul_f32_e32 v7, v0, v7
	v_fmac_f32_e32 v8, v0, v6
	v_fma_f32 v6, v6, v1, -v7
	v_cvt_f64_f32_e32 v[0:1], v8
	v_cvt_f64_f32_e32 v[6:7], v6
	v_mul_f64 v[0:1], v[0:1], s[4:5]
	v_mul_f64 v[6:7], v[6:7], s[4:5]
	v_cvt_f32_f64_e32 v0, v[0:1]
	v_cvt_f32_f64_e32 v1, v[6:7]
	;; [unrolled: 32-line block ×3, first 2 shown]
	v_add_co_u32 v6, vcc_lo, 0x3000, v100
	v_add_co_ci_u32_e32 v7, vcc_lo, 0, v101, vcc_lo
	global_store_dwordx2 v[4:5], v[0:1], off
	global_load_dwordx2 v[0:1], v[6:7], off offset:32
	s_waitcnt vmcnt(0)
	v_mul_f32_e32 v6, v3, v1
	v_mul_f32_e32 v1, v2, v1
	v_fmac_f32_e32 v6, v2, v0
	v_fma_f32 v2, v0, v3, -v1
	v_cvt_f64_f32_e32 v[0:1], v6
	v_cvt_f64_f32_e32 v[2:3], v2
	v_mul_f64 v[0:1], v[0:1], s[4:5]
	v_mul_f64 v[2:3], v[2:3], s[4:5]
	v_cvt_f32_f64_e32 v0, v[0:1]
	v_cvt_f32_f64_e32 v1, v[2:3]
	v_add_co_u32 v2, vcc_lo, v4, s6
	v_add_co_ci_u32_e32 v3, vcc_lo, s7, v5, vcc_lo
	global_store_dwordx2 v[2:3], v[0:1], off
.LBB0_23:
	s_endpgm
	.section	.rodata,"a",@progbits
	.p2align	6, 0x0
	.amdhsa_kernel bluestein_single_back_len1600_dim1_sp_op_CI_CI
		.amdhsa_group_segment_fixed_size 25600
		.amdhsa_private_segment_fixed_size 0
		.amdhsa_kernarg_size 104
		.amdhsa_user_sgpr_count 6
		.amdhsa_user_sgpr_private_segment_buffer 1
		.amdhsa_user_sgpr_dispatch_ptr 0
		.amdhsa_user_sgpr_queue_ptr 0
		.amdhsa_user_sgpr_kernarg_segment_ptr 1
		.amdhsa_user_sgpr_dispatch_id 0
		.amdhsa_user_sgpr_flat_scratch_init 0
		.amdhsa_user_sgpr_private_segment_size 0
		.amdhsa_wavefront_size32 1
		.amdhsa_uses_dynamic_stack 0
		.amdhsa_system_sgpr_private_segment_wavefront_offset 0
		.amdhsa_system_sgpr_workgroup_id_x 1
		.amdhsa_system_sgpr_workgroup_id_y 0
		.amdhsa_system_sgpr_workgroup_id_z 0
		.amdhsa_system_sgpr_workgroup_info 0
		.amdhsa_system_vgpr_workitem_id 0
		.amdhsa_next_free_vgpr 203
		.amdhsa_next_free_sgpr 16
		.amdhsa_reserve_vcc 1
		.amdhsa_reserve_flat_scratch 0
		.amdhsa_float_round_mode_32 0
		.amdhsa_float_round_mode_16_64 0
		.amdhsa_float_denorm_mode_32 3
		.amdhsa_float_denorm_mode_16_64 3
		.amdhsa_dx10_clamp 1
		.amdhsa_ieee_mode 1
		.amdhsa_fp16_overflow 0
		.amdhsa_workgroup_processor_mode 1
		.amdhsa_memory_ordered 1
		.amdhsa_forward_progress 0
		.amdhsa_shared_vgpr_count 0
		.amdhsa_exception_fp_ieee_invalid_op 0
		.amdhsa_exception_fp_denorm_src 0
		.amdhsa_exception_fp_ieee_div_zero 0
		.amdhsa_exception_fp_ieee_overflow 0
		.amdhsa_exception_fp_ieee_underflow 0
		.amdhsa_exception_fp_ieee_inexact 0
		.amdhsa_exception_int_div_zero 0
	.end_amdhsa_kernel
	.text
.Lfunc_end0:
	.size	bluestein_single_back_len1600_dim1_sp_op_CI_CI, .Lfunc_end0-bluestein_single_back_len1600_dim1_sp_op_CI_CI
                                        ; -- End function
	.section	.AMDGPU.csdata,"",@progbits
; Kernel info:
; codeLenInByte = 17252
; NumSgprs: 18
; NumVgprs: 203
; ScratchSize: 0
; MemoryBound: 0
; FloatMode: 240
; IeeeMode: 1
; LDSByteSize: 25600 bytes/workgroup (compile time only)
; SGPRBlocks: 2
; VGPRBlocks: 25
; NumSGPRsForWavesPerEU: 18
; NumVGPRsForWavesPerEU: 203
; Occupancy: 4
; WaveLimiterHint : 1
; COMPUTE_PGM_RSRC2:SCRATCH_EN: 0
; COMPUTE_PGM_RSRC2:USER_SGPR: 6
; COMPUTE_PGM_RSRC2:TRAP_HANDLER: 0
; COMPUTE_PGM_RSRC2:TGID_X_EN: 1
; COMPUTE_PGM_RSRC2:TGID_Y_EN: 0
; COMPUTE_PGM_RSRC2:TGID_Z_EN: 0
; COMPUTE_PGM_RSRC2:TIDIG_COMP_CNT: 0
	.text
	.p2alignl 6, 3214868480
	.fill 48, 4, 3214868480
	.type	__hip_cuid_fc02c4bebf941fbf,@object ; @__hip_cuid_fc02c4bebf941fbf
	.section	.bss,"aw",@nobits
	.globl	__hip_cuid_fc02c4bebf941fbf
__hip_cuid_fc02c4bebf941fbf:
	.byte	0                               ; 0x0
	.size	__hip_cuid_fc02c4bebf941fbf, 1

	.ident	"AMD clang version 19.0.0git (https://github.com/RadeonOpenCompute/llvm-project roc-6.4.0 25133 c7fe45cf4b819c5991fe208aaa96edf142730f1d)"
	.section	".note.GNU-stack","",@progbits
	.addrsig
	.addrsig_sym __hip_cuid_fc02c4bebf941fbf
	.amdgpu_metadata
---
amdhsa.kernels:
  - .args:
      - .actual_access:  read_only
        .address_space:  global
        .offset:         0
        .size:           8
        .value_kind:     global_buffer
      - .actual_access:  read_only
        .address_space:  global
        .offset:         8
        .size:           8
        .value_kind:     global_buffer
      - .actual_access:  read_only
        .address_space:  global
        .offset:         16
        .size:           8
        .value_kind:     global_buffer
      - .actual_access:  read_only
        .address_space:  global
        .offset:         24
        .size:           8
        .value_kind:     global_buffer
      - .actual_access:  read_only
        .address_space:  global
        .offset:         32
        .size:           8
        .value_kind:     global_buffer
      - .offset:         40
        .size:           8
        .value_kind:     by_value
      - .address_space:  global
        .offset:         48
        .size:           8
        .value_kind:     global_buffer
      - .address_space:  global
        .offset:         56
        .size:           8
        .value_kind:     global_buffer
      - .address_space:  global
        .offset:         64
        .size:           8
        .value_kind:     global_buffer
      - .address_space:  global
        .offset:         72
        .size:           8
        .value_kind:     global_buffer
      - .offset:         80
        .size:           4
        .value_kind:     by_value
      - .address_space:  global
        .offset:         88
        .size:           8
        .value_kind:     global_buffer
      - .address_space:  global
        .offset:         96
        .size:           8
        .value_kind:     global_buffer
    .group_segment_fixed_size: 25600
    .kernarg_segment_align: 8
    .kernarg_segment_size: 104
    .language:       OpenCL C
    .language_version:
      - 2
      - 0
    .max_flat_workgroup_size: 200
    .name:           bluestein_single_back_len1600_dim1_sp_op_CI_CI
    .private_segment_fixed_size: 0
    .sgpr_count:     18
    .sgpr_spill_count: 0
    .symbol:         bluestein_single_back_len1600_dim1_sp_op_CI_CI.kd
    .uniform_work_group_size: 1
    .uses_dynamic_stack: false
    .vgpr_count:     203
    .vgpr_spill_count: 0
    .wavefront_size: 32
    .workgroup_processor_mode: 1
amdhsa.target:   amdgcn-amd-amdhsa--gfx1030
amdhsa.version:
  - 1
  - 2
...

	.end_amdgpu_metadata
